;; amdgpu-corpus repo=ROCm/rocBLAS kind=compiled arch=gfx1250 opt=O3
	.amdgcn_target "amdgcn-amd-amdhsa--gfx1250"
	.amdhsa_code_object_version 6
	.section	.text._ZL26rocblas_haxpy_mlt_8_kernelILi256EPKDF16_S1_PDF16_EviT0_lT1_llT2_lli,"axG",@progbits,_ZL26rocblas_haxpy_mlt_8_kernelILi256EPKDF16_S1_PDF16_EviT0_lT1_llT2_lli,comdat
	.globl	_ZL26rocblas_haxpy_mlt_8_kernelILi256EPKDF16_S1_PDF16_EviT0_lT1_llT2_lli ; -- Begin function _ZL26rocblas_haxpy_mlt_8_kernelILi256EPKDF16_S1_PDF16_EviT0_lT1_llT2_lli
	.p2align	8
	.type	_ZL26rocblas_haxpy_mlt_8_kernelILi256EPKDF16_S1_PDF16_EviT0_lT1_llT2_lli,@function
_ZL26rocblas_haxpy_mlt_8_kernelILi256EPKDF16_S1_PDF16_EviT0_lT1_llT2_lli: ; @_ZL26rocblas_haxpy_mlt_8_kernelILi256EPKDF16_S1_PDF16_EviT0_lT1_llT2_lli
; %bb.0:
	s_load_b32 s20, s[0:1], 0x48
	s_bfe_u32 s2, ttmp6, 0x40014
	s_lshr_b32 s3, ttmp7, 16
	s_add_co_i32 s2, s2, 1
	s_bfe_u32 s4, ttmp6, 0x40008
	s_mul_i32 s2, s3, s2
	s_getreg_b32 s21, hwreg(HW_REG_IB_STS2, 6, 4)
	s_add_co_i32 s4, s4, s2
	s_cmp_eq_u32 s21, 0
	s_cselect_b32 s2, s3, s4
	s_mov_b32 s3, 0
	s_wait_kmcnt 0x0
	s_cmp_ge_u32 s2, s20
	s_cbranch_scc1 .LBB0_5
; %bb.1:
	s_clause 0x1
	s_load_b32 s22, s[0:1], 0x0
	s_load_b512 s[4:19], s[0:1], 0x8
	s_wait_xcnt 0x0
	s_bfe_u32 s0, ttmp6, 0x4000c
	s_and_b32 s1, ttmp6, 15
	s_add_co_i32 s0, s0, 1
	v_mov_b32_e32 v1, 0
	s_mul_i32 s0, ttmp9, s0
	s_delay_alu instid0(SALU_CYCLE_1)
	s_add_co_i32 s24, s1, s0
	s_wait_kmcnt 0x0
	s_ashr_i32 s23, s22, 31
	s_lshl_b64 s[0:1], s[16:17], 1
	s_lshl_b64 s[10:11], s[10:11], 1
	s_cmp_eq_u32 s21, 0
	s_add_nc_u64 s[0:1], s[14:15], s[0:1]
	s_cselect_b32 s16, ttmp9, s24
	s_add_nc_u64 s[8:9], s[8:9], s[10:11]
	v_lshl_or_b32 v0, s16, 8, v0
	s_delay_alu instid0(VALU_DEP_1) | instskip(SKIP_1) | instid1(VALU_DEP_2)
	v_lshlrev_b64_e32 v[2:3], 3, v[0:1]
	v_lshlrev_b64_e32 v[4:5], 4, v[0:1]
	v_cmp_le_i64_e32 vcc_lo, s[22:23], v[2:3]
	s_delay_alu instid0(VALU_DEP_2)
	v_add_nc_u64_e32 v[2:3], s[8:9], v[4:5]
	v_add_nc_u64_e32 v[4:5], s[0:1], v[4:5]
	s_xor_b32 s0, vcc_lo, -1
	s_branch .LBB0_3
.LBB0_2:                                ;   in Loop: Header=BB0_3 Depth=1
	s_wait_xcnt 0x0
	s_or_b32 exec_lo, exec_lo, s1
	s_add_co_i32 s2, s2, 0x10000
	s_delay_alu instid0(SALU_CYCLE_1)
	s_cmp_lt_u32 s2, s20
	s_cbranch_scc0 .LBB0_5
.LBB0_3:                                ; =>This Inner Loop Header: Depth=1
	s_mul_u64 s[8:9], s[6:7], s[2:3]
	s_delay_alu instid0(SALU_CYCLE_1) | instskip(NEXT) | instid1(SALU_CYCLE_1)
	s_lshl_b64 s[8:9], s[8:9], 1
	s_add_nc_u64 s[8:9], s[4:5], s[8:9]
	global_load_u16 v0, v1, s[8:9]
	s_wait_loadcnt 0x0
	v_readfirstlane_b32 s1, v0
	s_pack_ll_b32_b16 s1, s1, s1
	s_delay_alu instid0(SALU_CYCLE_1) | instskip(NEXT) | instid1(SALU_CYCLE_1)
	s_and_b32 s1, s1, 0x7fff
	s_cmp_lg_u32 s1, 0
	s_cselect_b32 s1, -1, 0
	s_wait_xcnt 0x0
	s_and_b32 s8, s1, s0
	s_delay_alu instid0(SALU_CYCLE_1)
	s_and_saveexec_b32 s1, s8
	s_cbranch_execz .LBB0_2
; %bb.4:                                ;   in Loop: Header=BB0_3 Depth=1
	s_mul_u64 s[8:9], s[18:19], s[2:3]
	s_mul_u64 s[10:11], s[12:13], s[2:3]
	v_lshl_add_u64 v[14:15], s[8:9], 1, v[4:5]
	v_lshl_add_u64 v[16:17], s[10:11], 1, v[2:3]
	global_load_b128 v[6:9], v[14:15], off
	global_load_b128 v[10:13], v[16:17], off
	s_wait_loadcnt 0x0
	v_pk_fma_f16 v9, v0, v13, v9 op_sel_hi:[0,1,1]
	v_pk_fma_f16 v8, v0, v12, v8 op_sel_hi:[0,1,1]
	v_pk_fma_f16 v7, v0, v11, v7 op_sel_hi:[0,1,1]
	v_pk_fma_f16 v6, v0, v10, v6 op_sel_hi:[0,1,1]
	global_store_b128 v[14:15], v[6:9], off
	s_branch .LBB0_2
.LBB0_5:
	s_endpgm
	.section	.rodata,"a",@progbits
	.p2align	6, 0x0
	.amdhsa_kernel _ZL26rocblas_haxpy_mlt_8_kernelILi256EPKDF16_S1_PDF16_EviT0_lT1_llT2_lli
		.amdhsa_group_segment_fixed_size 0
		.amdhsa_private_segment_fixed_size 0
		.amdhsa_kernarg_size 76
		.amdhsa_user_sgpr_count 2
		.amdhsa_user_sgpr_dispatch_ptr 0
		.amdhsa_user_sgpr_queue_ptr 0
		.amdhsa_user_sgpr_kernarg_segment_ptr 1
		.amdhsa_user_sgpr_dispatch_id 0
		.amdhsa_user_sgpr_kernarg_preload_length 0
		.amdhsa_user_sgpr_kernarg_preload_offset 0
		.amdhsa_user_sgpr_private_segment_size 0
		.amdhsa_wavefront_size32 1
		.amdhsa_uses_dynamic_stack 0
		.amdhsa_enable_private_segment 0
		.amdhsa_system_sgpr_workgroup_id_x 1
		.amdhsa_system_sgpr_workgroup_id_y 0
		.amdhsa_system_sgpr_workgroup_id_z 1
		.amdhsa_system_sgpr_workgroup_info 0
		.amdhsa_system_vgpr_workitem_id 0
		.amdhsa_next_free_vgpr 18
		.amdhsa_next_free_sgpr 25
		.amdhsa_named_barrier_count 0
		.amdhsa_reserve_vcc 1
		.amdhsa_float_round_mode_32 0
		.amdhsa_float_round_mode_16_64 0
		.amdhsa_float_denorm_mode_32 3
		.amdhsa_float_denorm_mode_16_64 3
		.amdhsa_fp16_overflow 0
		.amdhsa_memory_ordered 1
		.amdhsa_forward_progress 1
		.amdhsa_inst_pref_size 4
		.amdhsa_round_robin_scheduling 0
		.amdhsa_exception_fp_ieee_invalid_op 0
		.amdhsa_exception_fp_denorm_src 0
		.amdhsa_exception_fp_ieee_div_zero 0
		.amdhsa_exception_fp_ieee_overflow 0
		.amdhsa_exception_fp_ieee_underflow 0
		.amdhsa_exception_fp_ieee_inexact 0
		.amdhsa_exception_int_div_zero 0
	.end_amdhsa_kernel
	.section	.text._ZL26rocblas_haxpy_mlt_8_kernelILi256EPKDF16_S1_PDF16_EviT0_lT1_llT2_lli,"axG",@progbits,_ZL26rocblas_haxpy_mlt_8_kernelILi256EPKDF16_S1_PDF16_EviT0_lT1_llT2_lli,comdat
.Lfunc_end0:
	.size	_ZL26rocblas_haxpy_mlt_8_kernelILi256EPKDF16_S1_PDF16_EviT0_lT1_llT2_lli, .Lfunc_end0-_ZL26rocblas_haxpy_mlt_8_kernelILi256EPKDF16_S1_PDF16_EviT0_lT1_llT2_lli
                                        ; -- End function
	.set _ZL26rocblas_haxpy_mlt_8_kernelILi256EPKDF16_S1_PDF16_EviT0_lT1_llT2_lli.num_vgpr, 18
	.set _ZL26rocblas_haxpy_mlt_8_kernelILi256EPKDF16_S1_PDF16_EviT0_lT1_llT2_lli.num_agpr, 0
	.set _ZL26rocblas_haxpy_mlt_8_kernelILi256EPKDF16_S1_PDF16_EviT0_lT1_llT2_lli.numbered_sgpr, 25
	.set _ZL26rocblas_haxpy_mlt_8_kernelILi256EPKDF16_S1_PDF16_EviT0_lT1_llT2_lli.num_named_barrier, 0
	.set _ZL26rocblas_haxpy_mlt_8_kernelILi256EPKDF16_S1_PDF16_EviT0_lT1_llT2_lli.private_seg_size, 0
	.set _ZL26rocblas_haxpy_mlt_8_kernelILi256EPKDF16_S1_PDF16_EviT0_lT1_llT2_lli.uses_vcc, 1
	.set _ZL26rocblas_haxpy_mlt_8_kernelILi256EPKDF16_S1_PDF16_EviT0_lT1_llT2_lli.uses_flat_scratch, 0
	.set _ZL26rocblas_haxpy_mlt_8_kernelILi256EPKDF16_S1_PDF16_EviT0_lT1_llT2_lli.has_dyn_sized_stack, 0
	.set _ZL26rocblas_haxpy_mlt_8_kernelILi256EPKDF16_S1_PDF16_EviT0_lT1_llT2_lli.has_recursion, 0
	.set _ZL26rocblas_haxpy_mlt_8_kernelILi256EPKDF16_S1_PDF16_EviT0_lT1_llT2_lli.has_indirect_call, 0
	.section	.AMDGPU.csdata,"",@progbits
; Kernel info:
; codeLenInByte = 412
; TotalNumSgprs: 27
; NumVgprs: 18
; ScratchSize: 0
; MemoryBound: 1
; FloatMode: 240
; IeeeMode: 1
; LDSByteSize: 0 bytes/workgroup (compile time only)
; SGPRBlocks: 0
; VGPRBlocks: 1
; NumSGPRsForWavesPerEU: 27
; NumVGPRsForWavesPerEU: 18
; NamedBarCnt: 0
; Occupancy: 16
; WaveLimiterHint : 0
; COMPUTE_PGM_RSRC2:SCRATCH_EN: 0
; COMPUTE_PGM_RSRC2:USER_SGPR: 2
; COMPUTE_PGM_RSRC2:TRAP_HANDLER: 0
; COMPUTE_PGM_RSRC2:TGID_X_EN: 1
; COMPUTE_PGM_RSRC2:TGID_Y_EN: 0
; COMPUTE_PGM_RSRC2:TGID_Z_EN: 1
; COMPUTE_PGM_RSRC2:TIDIG_COMP_CNT: 0
	.section	.text._ZL26rocblas_haxpy_mod_8_kernelILi256EPKDF16_S1_PDF16_EviT0_lT1_llT2_lli,"axG",@progbits,_ZL26rocblas_haxpy_mod_8_kernelILi256EPKDF16_S1_PDF16_EviT0_lT1_llT2_lli,comdat
	.globl	_ZL26rocblas_haxpy_mod_8_kernelILi256EPKDF16_S1_PDF16_EviT0_lT1_llT2_lli ; -- Begin function _ZL26rocblas_haxpy_mod_8_kernelILi256EPKDF16_S1_PDF16_EviT0_lT1_llT2_lli
	.p2align	8
	.type	_ZL26rocblas_haxpy_mod_8_kernelILi256EPKDF16_S1_PDF16_EviT0_lT1_llT2_lli,@function
_ZL26rocblas_haxpy_mod_8_kernelILi256EPKDF16_S1_PDF16_EviT0_lT1_llT2_lli: ; @_ZL26rocblas_haxpy_mod_8_kernelILi256EPKDF16_S1_PDF16_EviT0_lT1_llT2_lli
; %bb.0:
	s_load_b32 s20, s[0:1], 0x48
	s_bfe_u32 s2, ttmp6, 0x40014
	s_lshr_b32 s3, ttmp7, 16
	s_add_co_i32 s2, s2, 1
	s_bfe_u32 s4, ttmp6, 0x40008
	s_mul_i32 s2, s3, s2
	s_getreg_b32 s21, hwreg(HW_REG_IB_STS2, 6, 4)
	s_add_co_i32 s4, s4, s2
	s_cmp_eq_u32 s21, 0
	s_cselect_b32 s2, s3, s4
	s_mov_b32 s3, 0
	s_wait_kmcnt 0x0
	s_cmp_ge_u32 s2, s20
	s_cbranch_scc1 .LBB1_5
; %bb.1:
	s_clause 0x1
	s_load_b32 s22, s[0:1], 0x0
	s_load_b512 s[4:19], s[0:1], 0x8
	s_wait_xcnt 0x0
	s_bfe_u32 s0, ttmp6, 0x4000c
	s_and_b32 s1, ttmp6, 15
	s_add_co_i32 s0, s0, 1
	v_mov_b32_e32 v1, 0
	s_mul_i32 s0, ttmp9, s0
	s_delay_alu instid0(SALU_CYCLE_1) | instskip(SKIP_4) | instid1(SALU_CYCLE_1)
	s_add_co_i32 s1, s1, s0
	s_wait_kmcnt 0x0
	s_ashr_i32 s23, s22, 31
	s_cmp_eq_u32 s21, 0
	s_cselect_b32 s0, ttmp9, s1
	v_lshl_or_b32 v0, s0, 8, v0
	s_lshl_b64 s[0:1], s[10:11], 1
	s_lshl_b64 s[10:11], s[16:17], 1
	s_add_nc_u64 s[0:1], s[8:9], s[0:1]
	s_add_nc_u64 s[8:9], s[14:15], s[10:11]
	v_lshlrev_b64_e32 v[4:5], 1, v[0:1]
	v_cmp_gt_i64_e32 vcc_lo, s[22:23], v[0:1]
	s_delay_alu instid0(VALU_DEP_2)
	v_add_nc_u64_e32 v[2:3], s[0:1], v[4:5]
	v_add_nc_u64_e32 v[4:5], s[8:9], v[4:5]
	s_branch .LBB1_3
.LBB1_2:                                ;   in Loop: Header=BB1_3 Depth=1
	s_wait_xcnt 0x0
	s_or_b32 exec_lo, exec_lo, s0
	s_add_co_i32 s2, s2, 0x10000
	s_delay_alu instid0(SALU_CYCLE_1)
	s_cmp_lt_u32 s2, s20
	s_cbranch_scc0 .LBB1_5
.LBB1_3:                                ; =>This Inner Loop Header: Depth=1
	s_mul_u64 s[0:1], s[6:7], s[2:3]
	s_delay_alu instid0(SALU_CYCLE_1) | instskip(NEXT) | instid1(SALU_CYCLE_1)
	s_lshl_b64 s[0:1], s[0:1], 1
	s_add_nc_u64 s[0:1], s[4:5], s[0:1]
	global_load_u16 v0, v1, s[0:1]
	s_wait_loadcnt 0x0
	s_wait_xcnt 0x0
	v_readfirstlane_b32 s0, v0
	s_cmp_neq_f16 s0, 0
	s_cselect_b32 s0, -1, 0
	s_delay_alu instid0(SALU_CYCLE_1) | instskip(NEXT) | instid1(SALU_CYCLE_1)
	s_and_b32 s1, vcc_lo, s0
	s_and_saveexec_b32 s0, s1
	s_cbranch_execz .LBB1_2
; %bb.4:                                ;   in Loop: Header=BB1_3 Depth=1
	s_mul_u64 s[8:9], s[12:13], s[2:3]
	s_mul_u64 s[10:11], s[18:19], s[2:3]
	v_lshl_add_u64 v[6:7], s[8:9], 1, v[2:3]
	v_lshl_add_u64 v[8:9], s[10:11], 1, v[4:5]
	global_load_u16 v10, v[6:7], off
	global_load_u16 v11, v[8:9], off
	s_wait_loadcnt 0x0
	v_fmac_f16_e32 v11, v0, v10
	global_store_b16 v[8:9], v11, off
	s_branch .LBB1_2
.LBB1_5:
	s_endpgm
	.section	.rodata,"a",@progbits
	.p2align	6, 0x0
	.amdhsa_kernel _ZL26rocblas_haxpy_mod_8_kernelILi256EPKDF16_S1_PDF16_EviT0_lT1_llT2_lli
		.amdhsa_group_segment_fixed_size 0
		.amdhsa_private_segment_fixed_size 0
		.amdhsa_kernarg_size 76
		.amdhsa_user_sgpr_count 2
		.amdhsa_user_sgpr_dispatch_ptr 0
		.amdhsa_user_sgpr_queue_ptr 0
		.amdhsa_user_sgpr_kernarg_segment_ptr 1
		.amdhsa_user_sgpr_dispatch_id 0
		.amdhsa_user_sgpr_kernarg_preload_length 0
		.amdhsa_user_sgpr_kernarg_preload_offset 0
		.amdhsa_user_sgpr_private_segment_size 0
		.amdhsa_wavefront_size32 1
		.amdhsa_uses_dynamic_stack 0
		.amdhsa_enable_private_segment 0
		.amdhsa_system_sgpr_workgroup_id_x 1
		.amdhsa_system_sgpr_workgroup_id_y 0
		.amdhsa_system_sgpr_workgroup_id_z 1
		.amdhsa_system_sgpr_workgroup_info 0
		.amdhsa_system_vgpr_workitem_id 0
		.amdhsa_next_free_vgpr 12
		.amdhsa_next_free_sgpr 24
		.amdhsa_named_barrier_count 0
		.amdhsa_reserve_vcc 1
		.amdhsa_float_round_mode_32 0
		.amdhsa_float_round_mode_16_64 0
		.amdhsa_float_denorm_mode_32 3
		.amdhsa_float_denorm_mode_16_64 3
		.amdhsa_fp16_overflow 0
		.amdhsa_memory_ordered 1
		.amdhsa_forward_progress 1
		.amdhsa_inst_pref_size 3
		.amdhsa_round_robin_scheduling 0
		.amdhsa_exception_fp_ieee_invalid_op 0
		.amdhsa_exception_fp_denorm_src 0
		.amdhsa_exception_fp_ieee_div_zero 0
		.amdhsa_exception_fp_ieee_overflow 0
		.amdhsa_exception_fp_ieee_underflow 0
		.amdhsa_exception_fp_ieee_inexact 0
		.amdhsa_exception_int_div_zero 0
	.end_amdhsa_kernel
	.section	.text._ZL26rocblas_haxpy_mod_8_kernelILi256EPKDF16_S1_PDF16_EviT0_lT1_llT2_lli,"axG",@progbits,_ZL26rocblas_haxpy_mod_8_kernelILi256EPKDF16_S1_PDF16_EviT0_lT1_llT2_lli,comdat
.Lfunc_end1:
	.size	_ZL26rocblas_haxpy_mod_8_kernelILi256EPKDF16_S1_PDF16_EviT0_lT1_llT2_lli, .Lfunc_end1-_ZL26rocblas_haxpy_mod_8_kernelILi256EPKDF16_S1_PDF16_EviT0_lT1_llT2_lli
                                        ; -- End function
	.set _ZL26rocblas_haxpy_mod_8_kernelILi256EPKDF16_S1_PDF16_EviT0_lT1_llT2_lli.num_vgpr, 12
	.set _ZL26rocblas_haxpy_mod_8_kernelILi256EPKDF16_S1_PDF16_EviT0_lT1_llT2_lli.num_agpr, 0
	.set _ZL26rocblas_haxpy_mod_8_kernelILi256EPKDF16_S1_PDF16_EviT0_lT1_llT2_lli.numbered_sgpr, 24
	.set _ZL26rocblas_haxpy_mod_8_kernelILi256EPKDF16_S1_PDF16_EviT0_lT1_llT2_lli.num_named_barrier, 0
	.set _ZL26rocblas_haxpy_mod_8_kernelILi256EPKDF16_S1_PDF16_EviT0_lT1_llT2_lli.private_seg_size, 0
	.set _ZL26rocblas_haxpy_mod_8_kernelILi256EPKDF16_S1_PDF16_EviT0_lT1_llT2_lli.uses_vcc, 1
	.set _ZL26rocblas_haxpy_mod_8_kernelILi256EPKDF16_S1_PDF16_EviT0_lT1_llT2_lli.uses_flat_scratch, 0
	.set _ZL26rocblas_haxpy_mod_8_kernelILi256EPKDF16_S1_PDF16_EviT0_lT1_llT2_lli.has_dyn_sized_stack, 0
	.set _ZL26rocblas_haxpy_mod_8_kernelILi256EPKDF16_S1_PDF16_EviT0_lT1_llT2_lli.has_recursion, 0
	.set _ZL26rocblas_haxpy_mod_8_kernelILi256EPKDF16_S1_PDF16_EviT0_lT1_llT2_lli.has_indirect_call, 0
	.section	.AMDGPU.csdata,"",@progbits
; Kernel info:
; codeLenInByte = 356
; TotalNumSgprs: 26
; NumVgprs: 12
; ScratchSize: 0
; MemoryBound: 0
; FloatMode: 240
; IeeeMode: 1
; LDSByteSize: 0 bytes/workgroup (compile time only)
; SGPRBlocks: 0
; VGPRBlocks: 0
; NumSGPRsForWavesPerEU: 26
; NumVGPRsForWavesPerEU: 12
; NamedBarCnt: 0
; Occupancy: 16
; WaveLimiterHint : 0
; COMPUTE_PGM_RSRC2:SCRATCH_EN: 0
; COMPUTE_PGM_RSRC2:USER_SGPR: 2
; COMPUTE_PGM_RSRC2:TRAP_HANDLER: 0
; COMPUTE_PGM_RSRC2:TGID_X_EN: 1
; COMPUTE_PGM_RSRC2:TGID_Y_EN: 0
; COMPUTE_PGM_RSRC2:TGID_Z_EN: 1
; COMPUTE_PGM_RSRC2:TIDIG_COMP_CNT: 0
	.section	.text._ZL26rocblas_haxpy_mlt_8_kernelILi256EDF16_PKDF16_PDF16_EviT0_lT1_llT2_lli,"axG",@progbits,_ZL26rocblas_haxpy_mlt_8_kernelILi256EDF16_PKDF16_PDF16_EviT0_lT1_llT2_lli,comdat
	.globl	_ZL26rocblas_haxpy_mlt_8_kernelILi256EDF16_PKDF16_PDF16_EviT0_lT1_llT2_lli ; -- Begin function _ZL26rocblas_haxpy_mlt_8_kernelILi256EDF16_PKDF16_PDF16_EviT0_lT1_llT2_lli
	.p2align	8
	.type	_ZL26rocblas_haxpy_mlt_8_kernelILi256EDF16_PKDF16_PDF16_EviT0_lT1_llT2_lli,@function
_ZL26rocblas_haxpy_mlt_8_kernelILi256EDF16_PKDF16_PDF16_EviT0_lT1_llT2_lli: ; @_ZL26rocblas_haxpy_mlt_8_kernelILi256EDF16_PKDF16_PDF16_EviT0_lT1_llT2_lli
; %bb.0:
	s_load_b32 s16, s[0:1], 0x40
	s_bfe_u32 s2, ttmp6, 0x40014
	s_lshr_b32 s3, ttmp7, 16
	s_add_co_i32 s2, s2, 1
	s_bfe_u32 s4, ttmp6, 0x40008
	s_mul_i32 s2, s3, s2
	s_getreg_b32 s17, hwreg(HW_REG_IB_STS2, 6, 4)
	s_add_co_i32 s4, s4, s2
	s_cmp_eq_u32 s17, 0
	s_cselect_b32 s2, s3, s4
	s_mov_b32 s3, 0
	s_wait_kmcnt 0x0
	s_cmp_ge_u32 s2, s16
	s_cbranch_scc1 .LBB2_5
; %bb.1:
	s_clause 0x2
	s_load_b128 s[12:15], s[0:1], 0x30
	s_load_b256 s[4:11], s[0:1], 0x10
	s_load_b64 s[18:19], s[0:1], 0x0
	s_wait_xcnt 0x0
	s_bfe_u32 s0, ttmp6, 0x4000c
	s_and_b32 s1, ttmp6, 15
	s_add_co_i32 s0, s0, 1
	v_mov_b32_e32 v1, 0
	s_mul_i32 s0, ttmp9, s0
	s_delay_alu instid0(SALU_CYCLE_1)
	s_add_co_i32 s1, s1, s0
	s_wait_kmcnt 0x0
	s_lshl_b64 s[12:13], s[12:13], 1
	s_lshl_b64 s[6:7], s[6:7], 1
	s_cmp_eq_u32 s17, 0
	s_add_nc_u64 s[4:5], s[4:5], s[6:7]
	s_cselect_b32 s0, ttmp9, s1
	s_add_nc_u64 s[6:7], s[10:11], s[12:13]
	v_lshl_or_b32 v0, s0, 8, v0
	s_pack_ll_b32_b16 s0, s19, s19
	s_delay_alu instid0(SALU_CYCLE_1) | instskip(NEXT) | instid1(SALU_CYCLE_1)
	s_and_b32 s1, s0, 0x7fff
	s_cmp_lg_u32 s1, 0
	s_delay_alu instid0(VALU_DEP_1) | instskip(SKIP_4) | instid1(VALU_DEP_2)
	v_lshlrev_b64_e32 v[2:3], 3, v[0:1]
	v_lshlrev_b64_e32 v[4:5], 4, v[0:1]
	s_cselect_b32 s17, -1, 0
	s_ashr_i32 s19, s18, 31
	s_mov_b32 s1, s0
	v_cmp_gt_i64_e32 vcc_lo, s[18:19], v[2:3]
	s_delay_alu instid0(VALU_DEP_2)
	v_add_nc_u64_e32 v[0:1], s[4:5], v[4:5]
	v_add_nc_u64_e32 v[2:3], s[6:7], v[4:5]
	s_mov_b32 s4, s0
	s_mov_b32 s6, s0
	s_and_b32 s5, s17, vcc_lo
	s_branch .LBB2_3
.LBB2_2:                                ;   in Loop: Header=BB2_3 Depth=1
	s_wait_xcnt 0x0
	s_or_b32 exec_lo, exec_lo, s7
	s_add_co_i32 s2, s2, 0x10000
	s_delay_alu instid0(SALU_CYCLE_1)
	s_cmp_lt_u32 s2, s16
	s_cbranch_scc0 .LBB2_5
.LBB2_3:                                ; =>This Inner Loop Header: Depth=1
	s_and_saveexec_b32 s7, s5
	s_cbranch_execz .LBB2_2
; %bb.4:                                ;   in Loop: Header=BB2_3 Depth=1
	s_mul_u64 s[10:11], s[14:15], s[2:3]
	s_mul_u64 s[12:13], s[8:9], s[2:3]
	v_lshl_add_u64 v[12:13], s[10:11], 1, v[2:3]
	v_lshl_add_u64 v[14:15], s[12:13], 1, v[0:1]
	global_load_b128 v[4:7], v[12:13], off
	global_load_b128 v[8:11], v[14:15], off
	s_wait_loadcnt 0x0
	v_pk_fma_f16 v7, s6, v11, v7
	v_pk_fma_f16 v6, s4, v10, v6
	;; [unrolled: 1-line block ×4, first 2 shown]
	global_store_b128 v[12:13], v[4:7], off
	s_branch .LBB2_2
.LBB2_5:
	s_endpgm
	.section	.rodata,"a",@progbits
	.p2align	6, 0x0
	.amdhsa_kernel _ZL26rocblas_haxpy_mlt_8_kernelILi256EDF16_PKDF16_PDF16_EviT0_lT1_llT2_lli
		.amdhsa_group_segment_fixed_size 0
		.amdhsa_private_segment_fixed_size 0
		.amdhsa_kernarg_size 68
		.amdhsa_user_sgpr_count 2
		.amdhsa_user_sgpr_dispatch_ptr 0
		.amdhsa_user_sgpr_queue_ptr 0
		.amdhsa_user_sgpr_kernarg_segment_ptr 1
		.amdhsa_user_sgpr_dispatch_id 0
		.amdhsa_user_sgpr_kernarg_preload_length 0
		.amdhsa_user_sgpr_kernarg_preload_offset 0
		.amdhsa_user_sgpr_private_segment_size 0
		.amdhsa_wavefront_size32 1
		.amdhsa_uses_dynamic_stack 0
		.amdhsa_enable_private_segment 0
		.amdhsa_system_sgpr_workgroup_id_x 1
		.amdhsa_system_sgpr_workgroup_id_y 0
		.amdhsa_system_sgpr_workgroup_id_z 1
		.amdhsa_system_sgpr_workgroup_info 0
		.amdhsa_system_vgpr_workitem_id 0
		.amdhsa_next_free_vgpr 16
		.amdhsa_next_free_sgpr 20
		.amdhsa_named_barrier_count 0
		.amdhsa_reserve_vcc 1
		.amdhsa_float_round_mode_32 0
		.amdhsa_float_round_mode_16_64 0
		.amdhsa_float_denorm_mode_32 3
		.amdhsa_float_denorm_mode_16_64 3
		.amdhsa_fp16_overflow 0
		.amdhsa_memory_ordered 1
		.amdhsa_forward_progress 1
		.amdhsa_inst_pref_size 3
		.amdhsa_round_robin_scheduling 0
		.amdhsa_exception_fp_ieee_invalid_op 0
		.amdhsa_exception_fp_denorm_src 0
		.amdhsa_exception_fp_ieee_div_zero 0
		.amdhsa_exception_fp_ieee_overflow 0
		.amdhsa_exception_fp_ieee_underflow 0
		.amdhsa_exception_fp_ieee_inexact 0
		.amdhsa_exception_int_div_zero 0
	.end_amdhsa_kernel
	.section	.text._ZL26rocblas_haxpy_mlt_8_kernelILi256EDF16_PKDF16_PDF16_EviT0_lT1_llT2_lli,"axG",@progbits,_ZL26rocblas_haxpy_mlt_8_kernelILi256EDF16_PKDF16_PDF16_EviT0_lT1_llT2_lli,comdat
.Lfunc_end2:
	.size	_ZL26rocblas_haxpy_mlt_8_kernelILi256EDF16_PKDF16_PDF16_EviT0_lT1_llT2_lli, .Lfunc_end2-_ZL26rocblas_haxpy_mlt_8_kernelILi256EDF16_PKDF16_PDF16_EviT0_lT1_llT2_lli
                                        ; -- End function
	.set _ZL26rocblas_haxpy_mlt_8_kernelILi256EDF16_PKDF16_PDF16_EviT0_lT1_llT2_lli.num_vgpr, 16
	.set _ZL26rocblas_haxpy_mlt_8_kernelILi256EDF16_PKDF16_PDF16_EviT0_lT1_llT2_lli.num_agpr, 0
	.set _ZL26rocblas_haxpy_mlt_8_kernelILi256EDF16_PKDF16_PDF16_EviT0_lT1_llT2_lli.numbered_sgpr, 20
	.set _ZL26rocblas_haxpy_mlt_8_kernelILi256EDF16_PKDF16_PDF16_EviT0_lT1_llT2_lli.num_named_barrier, 0
	.set _ZL26rocblas_haxpy_mlt_8_kernelILi256EDF16_PKDF16_PDF16_EviT0_lT1_llT2_lli.private_seg_size, 0
	.set _ZL26rocblas_haxpy_mlt_8_kernelILi256EDF16_PKDF16_PDF16_EviT0_lT1_llT2_lli.uses_vcc, 1
	.set _ZL26rocblas_haxpy_mlt_8_kernelILi256EDF16_PKDF16_PDF16_EviT0_lT1_llT2_lli.uses_flat_scratch, 0
	.set _ZL26rocblas_haxpy_mlt_8_kernelILi256EDF16_PKDF16_PDF16_EviT0_lT1_llT2_lli.has_dyn_sized_stack, 0
	.set _ZL26rocblas_haxpy_mlt_8_kernelILi256EDF16_PKDF16_PDF16_EviT0_lT1_llT2_lli.has_recursion, 0
	.set _ZL26rocblas_haxpy_mlt_8_kernelILi256EDF16_PKDF16_PDF16_EviT0_lT1_llT2_lli.has_indirect_call, 0
	.section	.AMDGPU.csdata,"",@progbits
; Kernel info:
; codeLenInByte = 384
; TotalNumSgprs: 22
; NumVgprs: 16
; ScratchSize: 0
; MemoryBound: 1
; FloatMode: 240
; IeeeMode: 1
; LDSByteSize: 0 bytes/workgroup (compile time only)
; SGPRBlocks: 0
; VGPRBlocks: 0
; NumSGPRsForWavesPerEU: 22
; NumVGPRsForWavesPerEU: 16
; NamedBarCnt: 0
; Occupancy: 16
; WaveLimiterHint : 0
; COMPUTE_PGM_RSRC2:SCRATCH_EN: 0
; COMPUTE_PGM_RSRC2:USER_SGPR: 2
; COMPUTE_PGM_RSRC2:TRAP_HANDLER: 0
; COMPUTE_PGM_RSRC2:TGID_X_EN: 1
; COMPUTE_PGM_RSRC2:TGID_Y_EN: 0
; COMPUTE_PGM_RSRC2:TGID_Z_EN: 1
; COMPUTE_PGM_RSRC2:TIDIG_COMP_CNT: 0
	.section	.text._ZL26rocblas_haxpy_mod_8_kernelILi256EDF16_PKDF16_PDF16_EviT0_lT1_llT2_lli,"axG",@progbits,_ZL26rocblas_haxpy_mod_8_kernelILi256EDF16_PKDF16_PDF16_EviT0_lT1_llT2_lli,comdat
	.globl	_ZL26rocblas_haxpy_mod_8_kernelILi256EDF16_PKDF16_PDF16_EviT0_lT1_llT2_lli ; -- Begin function _ZL26rocblas_haxpy_mod_8_kernelILi256EDF16_PKDF16_PDF16_EviT0_lT1_llT2_lli
	.p2align	8
	.type	_ZL26rocblas_haxpy_mod_8_kernelILi256EDF16_PKDF16_PDF16_EviT0_lT1_llT2_lli,@function
_ZL26rocblas_haxpy_mod_8_kernelILi256EDF16_PKDF16_PDF16_EviT0_lT1_llT2_lli: ; @_ZL26rocblas_haxpy_mod_8_kernelILi256EDF16_PKDF16_PDF16_EviT0_lT1_llT2_lli
; %bb.0:
	s_load_b32 s18, s[0:1], 0x40
	s_bfe_u32 s2, ttmp6, 0x40014
	s_lshr_b32 s3, ttmp7, 16
	s_add_co_i32 s2, s2, 1
	s_bfe_u32 s4, ttmp6, 0x40008
	s_mul_i32 s2, s3, s2
	s_getreg_b32 s19, hwreg(HW_REG_IB_STS2, 6, 4)
	s_add_co_i32 s4, s4, s2
	s_cmp_eq_u32 s19, 0
	s_cselect_b32 s2, s3, s4
	s_mov_b32 s3, 0
	s_wait_kmcnt 0x0
	s_cmp_ge_u32 s2, s18
	s_cbranch_scc1 .LBB3_5
; %bb.1:
	s_clause 0x2
	s_load_b256 s[4:11], s[0:1], 0x10
	s_load_b128 s[12:15], s[0:1], 0x30
	s_load_b64 s[16:17], s[0:1], 0x0
	s_wait_xcnt 0x0
	s_bfe_u32 s0, ttmp6, 0x4000c
	s_and_b32 s1, ttmp6, 15
	s_add_co_i32 s0, s0, 1
	v_mov_b32_e32 v1, 0
	s_mul_i32 s0, ttmp9, s0
	s_delay_alu instid0(SALU_CYCLE_1) | instskip(SKIP_2) | instid1(SALU_CYCLE_1)
	s_add_co_i32 s1, s1, s0
	s_cmp_eq_u32 s19, 0
	s_cselect_b32 s0, ttmp9, s1
	v_lshl_or_b32 v0, s0, 8, v0
	s_delay_alu instid0(VALU_DEP_1)
	v_lshlrev_b64_e32 v[2:3], 1, v[0:1]
	s_wait_kmcnt 0x0
	s_lshl_b64 s[0:1], s[6:7], 1
	s_lshl_b64 s[6:7], s[12:13], 1
	s_cmp_neq_f16 s17, 0
	s_add_nc_u64 s[0:1], s[4:5], s[0:1]
	s_mov_b32 s4, s16
	s_add_nc_u64 s[6:7], s[10:11], s[6:7]
	s_cselect_b32 s12, -1, 0
	s_ashr_i32 s5, s16, 31
	s_delay_alu instid0(SALU_CYCLE_1)
	v_cmp_gt_i64_e32 vcc_lo, s[4:5], v[0:1]
	v_add_nc_u64_e32 v[0:1], s[0:1], v[2:3]
	v_add_nc_u64_e32 v[2:3], s[6:7], v[2:3]
	s_and_b32 s0, s12, vcc_lo
	s_branch .LBB3_3
.LBB3_2:                                ;   in Loop: Header=BB3_3 Depth=1
	s_wait_xcnt 0x0
	s_or_b32 exec_lo, exec_lo, s1
	s_add_co_i32 s2, s2, 0x10000
	s_delay_alu instid0(SALU_CYCLE_1)
	s_cmp_lt_u32 s2, s18
	s_cbranch_scc0 .LBB3_5
.LBB3_3:                                ; =>This Inner Loop Header: Depth=1
	s_and_saveexec_b32 s1, s0
	s_cbranch_execz .LBB3_2
; %bb.4:                                ;   in Loop: Header=BB3_3 Depth=1
	s_mul_u64 s[4:5], s[8:9], s[2:3]
	s_mul_u64 s[6:7], s[14:15], s[2:3]
	v_lshl_add_u64 v[4:5], s[4:5], 1, v[0:1]
	v_lshl_add_u64 v[6:7], s[6:7], 1, v[2:3]
	global_load_u16 v8, v[4:5], off
	global_load_u16 v9, v[6:7], off
	s_wait_loadcnt 0x0
	v_fmac_f16_e32 v9, s17, v8
	global_store_b16 v[6:7], v9, off
	s_branch .LBB3_2
.LBB3_5:
	s_endpgm
	.section	.rodata,"a",@progbits
	.p2align	6, 0x0
	.amdhsa_kernel _ZL26rocblas_haxpy_mod_8_kernelILi256EDF16_PKDF16_PDF16_EviT0_lT1_llT2_lli
		.amdhsa_group_segment_fixed_size 0
		.amdhsa_private_segment_fixed_size 0
		.amdhsa_kernarg_size 68
		.amdhsa_user_sgpr_count 2
		.amdhsa_user_sgpr_dispatch_ptr 0
		.amdhsa_user_sgpr_queue_ptr 0
		.amdhsa_user_sgpr_kernarg_segment_ptr 1
		.amdhsa_user_sgpr_dispatch_id 0
		.amdhsa_user_sgpr_kernarg_preload_length 0
		.amdhsa_user_sgpr_kernarg_preload_offset 0
		.amdhsa_user_sgpr_private_segment_size 0
		.amdhsa_wavefront_size32 1
		.amdhsa_uses_dynamic_stack 0
		.amdhsa_enable_private_segment 0
		.amdhsa_system_sgpr_workgroup_id_x 1
		.amdhsa_system_sgpr_workgroup_id_y 0
		.amdhsa_system_sgpr_workgroup_id_z 1
		.amdhsa_system_sgpr_workgroup_info 0
		.amdhsa_system_vgpr_workitem_id 0
		.amdhsa_next_free_vgpr 10
		.amdhsa_next_free_sgpr 20
		.amdhsa_named_barrier_count 0
		.amdhsa_reserve_vcc 1
		.amdhsa_float_round_mode_32 0
		.amdhsa_float_round_mode_16_64 0
		.amdhsa_float_denorm_mode_32 3
		.amdhsa_float_denorm_mode_16_64 3
		.amdhsa_fp16_overflow 0
		.amdhsa_memory_ordered 1
		.amdhsa_forward_progress 1
		.amdhsa_inst_pref_size 3
		.amdhsa_round_robin_scheduling 0
		.amdhsa_exception_fp_ieee_invalid_op 0
		.amdhsa_exception_fp_denorm_src 0
		.amdhsa_exception_fp_ieee_div_zero 0
		.amdhsa_exception_fp_ieee_overflow 0
		.amdhsa_exception_fp_ieee_underflow 0
		.amdhsa_exception_fp_ieee_inexact 0
		.amdhsa_exception_int_div_zero 0
	.end_amdhsa_kernel
	.section	.text._ZL26rocblas_haxpy_mod_8_kernelILi256EDF16_PKDF16_PDF16_EviT0_lT1_llT2_lli,"axG",@progbits,_ZL26rocblas_haxpy_mod_8_kernelILi256EDF16_PKDF16_PDF16_EviT0_lT1_llT2_lli,comdat
.Lfunc_end3:
	.size	_ZL26rocblas_haxpy_mod_8_kernelILi256EDF16_PKDF16_PDF16_EviT0_lT1_llT2_lli, .Lfunc_end3-_ZL26rocblas_haxpy_mod_8_kernelILi256EDF16_PKDF16_PDF16_EviT0_lT1_llT2_lli
                                        ; -- End function
	.set _ZL26rocblas_haxpy_mod_8_kernelILi256EDF16_PKDF16_PDF16_EviT0_lT1_llT2_lli.num_vgpr, 10
	.set _ZL26rocblas_haxpy_mod_8_kernelILi256EDF16_PKDF16_PDF16_EviT0_lT1_llT2_lli.num_agpr, 0
	.set _ZL26rocblas_haxpy_mod_8_kernelILi256EDF16_PKDF16_PDF16_EviT0_lT1_llT2_lli.numbered_sgpr, 20
	.set _ZL26rocblas_haxpy_mod_8_kernelILi256EDF16_PKDF16_PDF16_EviT0_lT1_llT2_lli.num_named_barrier, 0
	.set _ZL26rocblas_haxpy_mod_8_kernelILi256EDF16_PKDF16_PDF16_EviT0_lT1_llT2_lli.private_seg_size, 0
	.set _ZL26rocblas_haxpy_mod_8_kernelILi256EDF16_PKDF16_PDF16_EviT0_lT1_llT2_lli.uses_vcc, 1
	.set _ZL26rocblas_haxpy_mod_8_kernelILi256EDF16_PKDF16_PDF16_EviT0_lT1_llT2_lli.uses_flat_scratch, 0
	.set _ZL26rocblas_haxpy_mod_8_kernelILi256EDF16_PKDF16_PDF16_EviT0_lT1_llT2_lli.has_dyn_sized_stack, 0
	.set _ZL26rocblas_haxpy_mod_8_kernelILi256EDF16_PKDF16_PDF16_EviT0_lT1_llT2_lli.has_recursion, 0
	.set _ZL26rocblas_haxpy_mod_8_kernelILi256EDF16_PKDF16_PDF16_EviT0_lT1_llT2_lli.has_indirect_call, 0
	.section	.AMDGPU.csdata,"",@progbits
; Kernel info:
; codeLenInByte = 328
; TotalNumSgprs: 22
; NumVgprs: 10
; ScratchSize: 0
; MemoryBound: 0
; FloatMode: 240
; IeeeMode: 1
; LDSByteSize: 0 bytes/workgroup (compile time only)
; SGPRBlocks: 0
; VGPRBlocks: 0
; NumSGPRsForWavesPerEU: 22
; NumVGPRsForWavesPerEU: 10
; NamedBarCnt: 0
; Occupancy: 16
; WaveLimiterHint : 0
; COMPUTE_PGM_RSRC2:SCRATCH_EN: 0
; COMPUTE_PGM_RSRC2:USER_SGPR: 2
; COMPUTE_PGM_RSRC2:TRAP_HANDLER: 0
; COMPUTE_PGM_RSRC2:TGID_X_EN: 1
; COMPUTE_PGM_RSRC2:TGID_Y_EN: 0
; COMPUTE_PGM_RSRC2:TGID_Z_EN: 1
; COMPUTE_PGM_RSRC2:TIDIG_COMP_CNT: 0
	.section	.text._ZL22rocblas_saxpy_2_kernelILi256EDF16_PKDF16_S1_PDF16_EviT1_lT2_llT3_lli,"axG",@progbits,_ZL22rocblas_saxpy_2_kernelILi256EDF16_PKDF16_S1_PDF16_EviT1_lT2_llT3_lli,comdat
	.globl	_ZL22rocblas_saxpy_2_kernelILi256EDF16_PKDF16_S1_PDF16_EviT1_lT2_llT3_lli ; -- Begin function _ZL22rocblas_saxpy_2_kernelILi256EDF16_PKDF16_S1_PDF16_EviT1_lT2_llT3_lli
	.p2align	8
	.type	_ZL22rocblas_saxpy_2_kernelILi256EDF16_PKDF16_S1_PDF16_EviT1_lT2_llT3_lli,@function
_ZL22rocblas_saxpy_2_kernelILi256EDF16_PKDF16_S1_PDF16_EviT1_lT2_llT3_lli: ; @_ZL22rocblas_saxpy_2_kernelILi256EDF16_PKDF16_S1_PDF16_EviT1_lT2_llT3_lli
; %bb.0:
	s_load_b32 s16, s[0:1], 0x48
	s_bfe_u32 s2, ttmp6, 0x40014
	s_lshr_b32 s3, ttmp7, 16
	s_add_co_i32 s2, s2, 1
	s_bfe_u32 s4, ttmp6, 0x40008
	s_mul_i32 s2, s3, s2
	s_getreg_b32 s17, hwreg(HW_REG_IB_STS2, 6, 4)
	s_add_co_i32 s4, s4, s2
	s_cmp_eq_u32 s17, 0
	s_cselect_b32 s2, s3, s4
	s_mov_b32 s3, 0
	s_wait_kmcnt 0x0
	s_cmp_ge_u32 s2, s16
	s_cbranch_scc1 .LBB4_9
; %bb.1:
	s_clause 0x4
	s_load_b32 s22, s[0:1], 0x0
	s_load_b128 s[4:7], s[0:1], 0x20
	s_load_b128 s[8:11], s[0:1], 0x38
	s_load_b64 s[18:19], s[0:1], 0x18
	s_load_b64 s[20:21], s[0:1], 0x30
	s_bfe_u32 s23, ttmp6, 0x4000c
	s_load_b128 s[12:15], s[0:1], 0x8
	s_add_co_i32 s23, s23, 1
	s_wait_xcnt 0x0
	s_and_b32 s0, ttmp6, 15
	s_mul_i32 s1, ttmp9, s23
	v_dual_mov_b32 v1, 0 :: v_dual_lshlrev_b32 v0, 1, v0
	s_add_co_i32 s0, s0, s1
	s_cmp_eq_u32 s17, 0
	s_cselect_b32 s0, ttmp9, s0
	s_delay_alu instid0(VALU_DEP_1) | instid1(SALU_CYCLE_1)
	v_lshl_or_b32 v0, s0, 9, v0
	s_wait_kmcnt 0x0
	s_add_co_i32 s0, s22, -1
	s_lshl_b64 s[4:5], s[4:5], 1
	s_ashr_i32 s1, s0, 31
	s_lshl_b64 s[8:9], s[8:9], 1
	v_cmp_eq_u64_e32 vcc_lo, s[0:1], v[0:1]
	v_cmp_gt_i64_e64 s0, s[0:1], v[0:1]
	v_lshlrev_b64_e32 v[2:3], 1, v[0:1]
	s_bitcmp1_b32 s22, 0
	s_add_nc_u64 s[4:5], s[18:19], s[4:5]
	s_cselect_b32 s1, -1, 0
	s_add_nc_u64 s[8:9], s[20:21], s[8:9]
	s_and_b32 s1, s1, vcc_lo
	s_branch .LBB4_4
.LBB4_2:                                ;   in Loop: Header=BB4_4 Depth=1
	s_wait_xcnt 0x0
	s_or_b32 exec_lo, exec_lo, s17
.LBB4_3:                                ;   in Loop: Header=BB4_4 Depth=1
	s_add_co_i32 s2, s2, 0x10000
	s_delay_alu instid0(SALU_CYCLE_1)
	s_cmp_lt_u32 s2, s16
	s_cbranch_scc0 .LBB4_9
.LBB4_4:                                ; =>This Inner Loop Header: Depth=1
	s_wait_xcnt 0x0
	s_mul_u64 s[18:19], s[14:15], s[2:3]
	s_delay_alu instid0(SALU_CYCLE_1) | instskip(NEXT) | instid1(SALU_CYCLE_1)
	s_lshl_b64 s[18:19], s[18:19], 1
	s_add_nc_u64 s[18:19], s[12:13], s[18:19]
	global_load_u16 v0, v1, s[18:19]
	s_wait_loadcnt 0x0
	v_cmp_eq_f16_e32 vcc_lo, 0, v0
	s_cbranch_vccnz .LBB4_3
; %bb.5:                                ;   in Loop: Header=BB4_4 Depth=1
	s_wait_xcnt 0x0
	s_mul_u64 s[18:19], s[10:11], s[2:3]
	s_mul_u64 s[20:21], s[6:7], s[2:3]
	s_lshl_b64 s[18:19], s[18:19], 1
	s_lshl_b64 s[20:21], s[20:21], 1
	s_add_nc_u64 s[18:19], s[8:9], s[18:19]
	s_add_nc_u64 s[20:21], s[4:5], s[20:21]
	v_add_nc_u64_e32 v[4:5], s[18:19], v[2:3]
	v_add_nc_u64_e32 v[6:7], s[20:21], v[2:3]
	s_and_saveexec_b32 s17, s0
	s_cbranch_execz .LBB4_7
; %bb.6:                                ;   in Loop: Header=BB4_4 Depth=1
	global_load_b32 v8, v[4:5], off
	global_load_b32 v9, v[6:7], off
	s_wait_loadcnt 0x0
	v_pk_fma_f16 v8, v0, v9, v8 op_sel_hi:[0,1,1]
	global_store_b32 v[4:5], v8, off
.LBB4_7:                                ;   in Loop: Header=BB4_4 Depth=1
	s_wait_xcnt 0x0
	s_or_b32 exec_lo, exec_lo, s17
	s_and_saveexec_b32 s17, s1
	s_cbranch_execz .LBB4_2
; %bb.8:                                ;   in Loop: Header=BB4_4 Depth=1
	global_load_u16 v8, v[4:5], off
	global_load_u16 v9, v[6:7], off
	s_wait_loadcnt 0x0
	v_fmac_f16_e32 v8, v0, v9
	global_store_b16 v[4:5], v8, off
	s_branch .LBB4_2
.LBB4_9:
	s_endpgm
	.section	.rodata,"a",@progbits
	.p2align	6, 0x0
	.amdhsa_kernel _ZL22rocblas_saxpy_2_kernelILi256EDF16_PKDF16_S1_PDF16_EviT1_lT2_llT3_lli
		.amdhsa_group_segment_fixed_size 0
		.amdhsa_private_segment_fixed_size 0
		.amdhsa_kernarg_size 76
		.amdhsa_user_sgpr_count 2
		.amdhsa_user_sgpr_dispatch_ptr 0
		.amdhsa_user_sgpr_queue_ptr 0
		.amdhsa_user_sgpr_kernarg_segment_ptr 1
		.amdhsa_user_sgpr_dispatch_id 0
		.amdhsa_user_sgpr_kernarg_preload_length 0
		.amdhsa_user_sgpr_kernarg_preload_offset 0
		.amdhsa_user_sgpr_private_segment_size 0
		.amdhsa_wavefront_size32 1
		.amdhsa_uses_dynamic_stack 0
		.amdhsa_enable_private_segment 0
		.amdhsa_system_sgpr_workgroup_id_x 1
		.amdhsa_system_sgpr_workgroup_id_y 0
		.amdhsa_system_sgpr_workgroup_id_z 1
		.amdhsa_system_sgpr_workgroup_info 0
		.amdhsa_system_vgpr_workitem_id 0
		.amdhsa_next_free_vgpr 10
		.amdhsa_next_free_sgpr 24
		.amdhsa_named_barrier_count 0
		.amdhsa_reserve_vcc 1
		.amdhsa_float_round_mode_32 0
		.amdhsa_float_round_mode_16_64 0
		.amdhsa_float_denorm_mode_32 3
		.amdhsa_float_denorm_mode_16_64 3
		.amdhsa_fp16_overflow 0
		.amdhsa_memory_ordered 1
		.amdhsa_forward_progress 1
		.amdhsa_inst_pref_size 4
		.amdhsa_round_robin_scheduling 0
		.amdhsa_exception_fp_ieee_invalid_op 0
		.amdhsa_exception_fp_denorm_src 0
		.amdhsa_exception_fp_ieee_div_zero 0
		.amdhsa_exception_fp_ieee_overflow 0
		.amdhsa_exception_fp_ieee_underflow 0
		.amdhsa_exception_fp_ieee_inexact 0
		.amdhsa_exception_int_div_zero 0
	.end_amdhsa_kernel
	.section	.text._ZL22rocblas_saxpy_2_kernelILi256EDF16_PKDF16_S1_PDF16_EviT1_lT2_llT3_lli,"axG",@progbits,_ZL22rocblas_saxpy_2_kernelILi256EDF16_PKDF16_S1_PDF16_EviT1_lT2_llT3_lli,comdat
.Lfunc_end4:
	.size	_ZL22rocblas_saxpy_2_kernelILi256EDF16_PKDF16_S1_PDF16_EviT1_lT2_llT3_lli, .Lfunc_end4-_ZL22rocblas_saxpy_2_kernelILi256EDF16_PKDF16_S1_PDF16_EviT1_lT2_llT3_lli
                                        ; -- End function
	.set _ZL22rocblas_saxpy_2_kernelILi256EDF16_PKDF16_S1_PDF16_EviT1_lT2_llT3_lli.num_vgpr, 10
	.set _ZL22rocblas_saxpy_2_kernelILi256EDF16_PKDF16_S1_PDF16_EviT1_lT2_llT3_lli.num_agpr, 0
	.set _ZL22rocblas_saxpy_2_kernelILi256EDF16_PKDF16_S1_PDF16_EviT1_lT2_llT3_lli.numbered_sgpr, 24
	.set _ZL22rocblas_saxpy_2_kernelILi256EDF16_PKDF16_S1_PDF16_EviT1_lT2_llT3_lli.num_named_barrier, 0
	.set _ZL22rocblas_saxpy_2_kernelILi256EDF16_PKDF16_S1_PDF16_EviT1_lT2_llT3_lli.private_seg_size, 0
	.set _ZL22rocblas_saxpy_2_kernelILi256EDF16_PKDF16_S1_PDF16_EviT1_lT2_llT3_lli.uses_vcc, 1
	.set _ZL22rocblas_saxpy_2_kernelILi256EDF16_PKDF16_S1_PDF16_EviT1_lT2_llT3_lli.uses_flat_scratch, 0
	.set _ZL22rocblas_saxpy_2_kernelILi256EDF16_PKDF16_S1_PDF16_EviT1_lT2_llT3_lli.has_dyn_sized_stack, 0
	.set _ZL22rocblas_saxpy_2_kernelILi256EDF16_PKDF16_S1_PDF16_EviT1_lT2_llT3_lli.has_recursion, 0
	.set _ZL22rocblas_saxpy_2_kernelILi256EDF16_PKDF16_S1_PDF16_EviT1_lT2_llT3_lli.has_indirect_call, 0
	.section	.AMDGPU.csdata,"",@progbits
; Kernel info:
; codeLenInByte = 468
; TotalNumSgprs: 26
; NumVgprs: 10
; ScratchSize: 0
; MemoryBound: 0
; FloatMode: 240
; IeeeMode: 1
; LDSByteSize: 0 bytes/workgroup (compile time only)
; SGPRBlocks: 0
; VGPRBlocks: 0
; NumSGPRsForWavesPerEU: 26
; NumVGPRsForWavesPerEU: 10
; NamedBarCnt: 0
; Occupancy: 16
; WaveLimiterHint : 0
; COMPUTE_PGM_RSRC2:SCRATCH_EN: 0
; COMPUTE_PGM_RSRC2:USER_SGPR: 2
; COMPUTE_PGM_RSRC2:TRAP_HANDLER: 0
; COMPUTE_PGM_RSRC2:TGID_X_EN: 1
; COMPUTE_PGM_RSRC2:TGID_Y_EN: 0
; COMPUTE_PGM_RSRC2:TGID_Z_EN: 1
; COMPUTE_PGM_RSRC2:TIDIG_COMP_CNT: 0
	.section	.text._ZL22rocblas_saxpy_2_kernelILi256EDF16_DF16_PKDF16_PDF16_EviT1_lT2_llT3_lli,"axG",@progbits,_ZL22rocblas_saxpy_2_kernelILi256EDF16_DF16_PKDF16_PDF16_EviT1_lT2_llT3_lli,comdat
	.globl	_ZL22rocblas_saxpy_2_kernelILi256EDF16_DF16_PKDF16_PDF16_EviT1_lT2_llT3_lli ; -- Begin function _ZL22rocblas_saxpy_2_kernelILi256EDF16_DF16_PKDF16_PDF16_EviT1_lT2_llT3_lli
	.p2align	8
	.type	_ZL22rocblas_saxpy_2_kernelILi256EDF16_DF16_PKDF16_PDF16_EviT1_lT2_llT3_lli,@function
_ZL22rocblas_saxpy_2_kernelILi256EDF16_DF16_PKDF16_PDF16_EviT1_lT2_llT3_lli: ; @_ZL22rocblas_saxpy_2_kernelILi256EDF16_DF16_PKDF16_PDF16_EviT1_lT2_llT3_lli
; %bb.0:
	s_load_b32 s14, s[0:1], 0x40
	s_bfe_u32 s2, ttmp6, 0x40014
	s_lshr_b32 s3, ttmp7, 16
	s_add_co_i32 s2, s2, 1
	s_bfe_u32 s4, ttmp6, 0x40008
	s_mul_i32 s2, s3, s2
	s_getreg_b32 s15, hwreg(HW_REG_IB_STS2, 6, 4)
	s_add_co_i32 s4, s4, s2
	s_cmp_eq_u32 s15, 0
	s_cselect_b32 s2, s3, s4
	s_mov_b32 s3, 0
	s_wait_kmcnt 0x0
	s_cmp_ge_u32 s2, s14
	s_cbranch_scc1 .LBB5_9
; %bb.1:
	s_clause 0x2
	s_load_b128 s[4:7], s[0:1], 0x18
	s_load_b128 s[8:11], s[0:1], 0x30
	s_load_b64 s[12:13], s[0:1], 0x0
	s_bfe_u32 s18, ttmp6, 0x4000c
	s_and_b32 s20, ttmp6, 15
	s_add_co_i32 s18, s18, 1
	s_load_b64 s[16:17], s[0:1], 0x10
	s_mul_i32 s21, ttmp9, s18
	s_load_b64 s[18:19], s[0:1], 0x28
	s_add_co_i32 s20, s20, s21
	s_cmp_eq_u32 s15, 0
	v_dual_mov_b32 v3, 0 :: v_dual_lshlrev_b32 v0, 1, v0
	s_wait_xcnt 0x0
	s_cselect_b32 s0, ttmp9, s20
	s_delay_alu instid0(VALU_DEP_1) | instid1(SALU_CYCLE_1)
	v_lshl_or_b32 v2, s0, 9, v0
	s_wait_kmcnt 0x0
	s_lshl_b64 s[4:5], s[4:5], 1
	s_lshl_b64 s[8:9], s[8:9], 1
	s_cmp_neq_f16 s13, 0
	v_lshlrev_b64_e32 v[0:1], 1, v[2:3]
	s_pack_ll_b32_b16 s15, s13, s13
	s_add_nc_u64 s[4:5], s[16:17], s[4:5]
	s_cselect_b32 s1, -1, 0
	s_add_co_i32 s20, s12, -1
	s_add_nc_u64 s[8:9], s[18:19], s[8:9]
	s_ashr_i32 s21, s20, 31
	s_bitcmp1_b32 s12, 0
	v_cmp_eq_u64_e32 vcc_lo, s[20:21], v[2:3]
	v_cmp_gt_i64_e64 s0, s[20:21], v[2:3]
	s_cselect_b32 s12, -1, 0
	s_delay_alu instid0(SALU_CYCLE_1)
	s_and_b32 s12, s12, vcc_lo
	s_branch .LBB5_4
.LBB5_2:                                ;   in Loop: Header=BB5_4 Depth=1
	s_wait_xcnt 0x0
	s_or_b32 exec_lo, exec_lo, s16
.LBB5_3:                                ;   in Loop: Header=BB5_4 Depth=1
	s_add_co_i32 s2, s2, 0x10000
	s_delay_alu instid0(SALU_CYCLE_1)
	s_cmp_lt_u32 s2, s14
	s_cbranch_scc0 .LBB5_9
.LBB5_4:                                ; =>This Inner Loop Header: Depth=1
	s_and_not1_b32 vcc_lo, exec_lo, s1
	s_cbranch_vccnz .LBB5_3
; %bb.5:                                ;   in Loop: Header=BB5_4 Depth=1
	s_mul_u64 s[16:17], s[10:11], s[2:3]
	s_mul_u64 s[18:19], s[6:7], s[2:3]
	s_lshl_b64 s[16:17], s[16:17], 1
	s_lshl_b64 s[18:19], s[18:19], 1
	s_add_nc_u64 s[16:17], s[8:9], s[16:17]
	s_add_nc_u64 s[18:19], s[4:5], s[18:19]
	v_add_nc_u64_e32 v[2:3], s[16:17], v[0:1]
	v_add_nc_u64_e32 v[4:5], s[18:19], v[0:1]
	s_and_saveexec_b32 s16, s0
	s_cbranch_execz .LBB5_7
; %bb.6:                                ;   in Loop: Header=BB5_4 Depth=1
	global_load_b32 v6, v[2:3], off
	global_load_b32 v7, v[4:5], off
	s_wait_loadcnt 0x0
	v_pk_fma_f16 v6, s15, v7, v6
	global_store_b32 v[2:3], v6, off
.LBB5_7:                                ;   in Loop: Header=BB5_4 Depth=1
	s_wait_xcnt 0x0
	s_or_b32 exec_lo, exec_lo, s16
	s_and_saveexec_b32 s16, s12
	s_cbranch_execz .LBB5_2
; %bb.8:                                ;   in Loop: Header=BB5_4 Depth=1
	global_load_u16 v6, v[2:3], off
	global_load_u16 v7, v[4:5], off
	s_wait_loadcnt 0x0
	v_fmac_f16_e32 v6, s13, v7
	global_store_b16 v[2:3], v6, off
	s_branch .LBB5_2
.LBB5_9:
	s_endpgm
	.section	.rodata,"a",@progbits
	.p2align	6, 0x0
	.amdhsa_kernel _ZL22rocblas_saxpy_2_kernelILi256EDF16_DF16_PKDF16_PDF16_EviT1_lT2_llT3_lli
		.amdhsa_group_segment_fixed_size 0
		.amdhsa_private_segment_fixed_size 0
		.amdhsa_kernarg_size 68
		.amdhsa_user_sgpr_count 2
		.amdhsa_user_sgpr_dispatch_ptr 0
		.amdhsa_user_sgpr_queue_ptr 0
		.amdhsa_user_sgpr_kernarg_segment_ptr 1
		.amdhsa_user_sgpr_dispatch_id 0
		.amdhsa_user_sgpr_kernarg_preload_length 0
		.amdhsa_user_sgpr_kernarg_preload_offset 0
		.amdhsa_user_sgpr_private_segment_size 0
		.amdhsa_wavefront_size32 1
		.amdhsa_uses_dynamic_stack 0
		.amdhsa_enable_private_segment 0
		.amdhsa_system_sgpr_workgroup_id_x 1
		.amdhsa_system_sgpr_workgroup_id_y 0
		.amdhsa_system_sgpr_workgroup_id_z 1
		.amdhsa_system_sgpr_workgroup_info 0
		.amdhsa_system_vgpr_workitem_id 0
		.amdhsa_next_free_vgpr 8
		.amdhsa_next_free_sgpr 22
		.amdhsa_named_barrier_count 0
		.amdhsa_reserve_vcc 1
		.amdhsa_float_round_mode_32 0
		.amdhsa_float_round_mode_16_64 0
		.amdhsa_float_denorm_mode_32 3
		.amdhsa_float_denorm_mode_16_64 3
		.amdhsa_fp16_overflow 0
		.amdhsa_memory_ordered 1
		.amdhsa_forward_progress 1
		.amdhsa_inst_pref_size 4
		.amdhsa_round_robin_scheduling 0
		.amdhsa_exception_fp_ieee_invalid_op 0
		.amdhsa_exception_fp_denorm_src 0
		.amdhsa_exception_fp_ieee_div_zero 0
		.amdhsa_exception_fp_ieee_overflow 0
		.amdhsa_exception_fp_ieee_underflow 0
		.amdhsa_exception_fp_ieee_inexact 0
		.amdhsa_exception_int_div_zero 0
	.end_amdhsa_kernel
	.section	.text._ZL22rocblas_saxpy_2_kernelILi256EDF16_DF16_PKDF16_PDF16_EviT1_lT2_llT3_lli,"axG",@progbits,_ZL22rocblas_saxpy_2_kernelILi256EDF16_DF16_PKDF16_PDF16_EviT1_lT2_llT3_lli,comdat
.Lfunc_end5:
	.size	_ZL22rocblas_saxpy_2_kernelILi256EDF16_DF16_PKDF16_PDF16_EviT1_lT2_llT3_lli, .Lfunc_end5-_ZL22rocblas_saxpy_2_kernelILi256EDF16_DF16_PKDF16_PDF16_EviT1_lT2_llT3_lli
                                        ; -- End function
	.set _ZL22rocblas_saxpy_2_kernelILi256EDF16_DF16_PKDF16_PDF16_EviT1_lT2_llT3_lli.num_vgpr, 8
	.set _ZL22rocblas_saxpy_2_kernelILi256EDF16_DF16_PKDF16_PDF16_EviT1_lT2_llT3_lli.num_agpr, 0
	.set _ZL22rocblas_saxpy_2_kernelILi256EDF16_DF16_PKDF16_PDF16_EviT1_lT2_llT3_lli.numbered_sgpr, 22
	.set _ZL22rocblas_saxpy_2_kernelILi256EDF16_DF16_PKDF16_PDF16_EviT1_lT2_llT3_lli.num_named_barrier, 0
	.set _ZL22rocblas_saxpy_2_kernelILi256EDF16_DF16_PKDF16_PDF16_EviT1_lT2_llT3_lli.private_seg_size, 0
	.set _ZL22rocblas_saxpy_2_kernelILi256EDF16_DF16_PKDF16_PDF16_EviT1_lT2_llT3_lli.uses_vcc, 1
	.set _ZL22rocblas_saxpy_2_kernelILi256EDF16_DF16_PKDF16_PDF16_EviT1_lT2_llT3_lli.uses_flat_scratch, 0
	.set _ZL22rocblas_saxpy_2_kernelILi256EDF16_DF16_PKDF16_PDF16_EviT1_lT2_llT3_lli.has_dyn_sized_stack, 0
	.set _ZL22rocblas_saxpy_2_kernelILi256EDF16_DF16_PKDF16_PDF16_EviT1_lT2_llT3_lli.has_recursion, 0
	.set _ZL22rocblas_saxpy_2_kernelILi256EDF16_DF16_PKDF16_PDF16_EviT1_lT2_llT3_lli.has_indirect_call, 0
	.section	.AMDGPU.csdata,"",@progbits
; Kernel info:
; codeLenInByte = 436
; TotalNumSgprs: 24
; NumVgprs: 8
; ScratchSize: 0
; MemoryBound: 0
; FloatMode: 240
; IeeeMode: 1
; LDSByteSize: 0 bytes/workgroup (compile time only)
; SGPRBlocks: 0
; VGPRBlocks: 0
; NumSGPRsForWavesPerEU: 24
; NumVGPRsForWavesPerEU: 8
; NamedBarCnt: 0
; Occupancy: 16
; WaveLimiterHint : 0
; COMPUTE_PGM_RSRC2:SCRATCH_EN: 0
; COMPUTE_PGM_RSRC2:USER_SGPR: 2
; COMPUTE_PGM_RSRC2:TRAP_HANDLER: 0
; COMPUTE_PGM_RSRC2:TGID_X_EN: 1
; COMPUTE_PGM_RSRC2:TGID_Y_EN: 0
; COMPUTE_PGM_RSRC2:TGID_Z_EN: 1
; COMPUTE_PGM_RSRC2:TIDIG_COMP_CNT: 0
	.section	.text._ZL27rocblas_axpy_kernel_batchedIiLi128ELi8EDF16_PKDF16_S1_PDF16_EviT3_lT4_lT_lT5_lS5_li,"axG",@progbits,_ZL27rocblas_axpy_kernel_batchedIiLi128ELi8EDF16_PKDF16_S1_PDF16_EviT3_lT4_lT_lT5_lS5_li,comdat
	.globl	_ZL27rocblas_axpy_kernel_batchedIiLi128ELi8EDF16_PKDF16_S1_PDF16_EviT3_lT4_lT_lT5_lS5_li ; -- Begin function _ZL27rocblas_axpy_kernel_batchedIiLi128ELi8EDF16_PKDF16_S1_PDF16_EviT3_lT4_lT_lT5_lS5_li
	.p2align	8
	.type	_ZL27rocblas_axpy_kernel_batchedIiLi128ELi8EDF16_PKDF16_S1_PDF16_EviT3_lT4_lT_lT5_lS5_li,@function
_ZL27rocblas_axpy_kernel_batchedIiLi128ELi8EDF16_PKDF16_S1_PDF16_EviT3_lT4_lT_lT5_lS5_li: ; @_ZL27rocblas_axpy_kernel_batchedIiLi128ELi8EDF16_PKDF16_S1_PDF16_EviT3_lT4_lT_lT5_lS5_li
; %bb.0:
	s_load_b32 s4, s[0:1], 0x0
	s_bfe_u32 s2, ttmp6, 0x4000c
	s_and_b32 s3, ttmp6, 15
	s_add_co_i32 s5, s2, 1
	s_getreg_b32 s2, hwreg(HW_REG_IB_STS2, 6, 4)
	s_mul_i32 s5, ttmp9, s5
	v_and_b32_e32 v1, 0x3ff, v0
	s_add_co_i32 s3, s3, s5
	v_mov_b32_e32 v3, 0
	s_wait_kmcnt 0x0
	s_ashr_i32 s5, s4, 31
	s_cmp_eq_u32 s2, 0
	s_cselect_b32 s3, ttmp9, s3
	s_delay_alu instid0(SALU_CYCLE_1) | instskip(SKIP_1) | instid1(VALU_DEP_1)
	v_lshl_add_u32 v2, s3, 7, v1
	s_mov_b32 s3, exec_lo
	v_cmpx_gt_i64_e64 s[4:5], v[2:3]
	s_cbranch_execz .LBB6_15
; %bb.1:
	s_load_b32 s16, s[0:1], 0x58
	s_bfe_u32 s3, ttmp6, 0x40014
	v_lshrrev_b32_e32 v0, 8, v0
	s_lshr_b32 s4, ttmp7, 16
	s_add_co_i32 s3, s3, 1
	s_bfe_u32 s5, ttmp6, 0x40008
	s_mul_i32 s3, s4, s3
	v_and_b32_e32 v0, 0xffc, v0
	s_add_co_i32 s5, s5, s3
	s_cmp_eq_u32 s2, 0
	s_cselect_b32 s2, s4, s5
	s_delay_alu instid0(VALU_DEP_1) | instid1(SALU_CYCLE_1)
	v_lshl_add_u32 v0, s2, 5, v0
	s_wait_kmcnt 0x0
	s_delay_alu instid0(VALU_DEP_1)
	v_cmp_gt_u32_e32 vcc_lo, s16, v0
	s_and_b32 exec_lo, exec_lo, vcc_lo
	s_cbranch_execz .LBB6_15
; %bb.2:
	s_clause 0x4
	s_load_b32 s4, s[0:1], 0x28
	s_load_b96 s[20:22], s[0:1], 0x40
	s_load_b128 s[12:15], s[0:1], 0x30
	s_load_b64 s[2:3], s[0:1], 0x50
	s_load_b32 s17, s[0:1], 0x68
	v_mov_b32_e32 v1, 0
	s_wait_kmcnt 0x0
	s_ashr_i32 s5, s4, 31
	s_ashr_i32 s7, s22, 31
	s_mov_b32 s6, s22
	v_mul_u64_e32 v[4:5], s[4:5], v[2:3]
	v_mul_u64_e32 v[6:7], s[6:7], v[2:3]
	s_load_b256 s[4:11], s[0:1], 0x8
	s_wait_kmcnt 0x0
	s_lshl_b64 s[0:1], s[10:11], 1
	s_lshl_b64 s[10:11], s[20:21], 1
	s_add_nc_u64 s[0:1], s[8:9], s[0:1]
	s_add_nc_u64 s[8:9], s[14:15], s[10:11]
	s_delay_alu instid0(VALU_DEP_2) | instskip(NEXT) | instid1(VALU_DEP_2)
	v_lshl_add_u64 v[2:3], v[4:5], 1, s[0:1]
	v_lshl_add_u64 v[4:5], v[6:7], 1, s[8:9]
	s_lshl_b32 s0, s17, 5
	s_mov_b32 s1, 0
	s_branch .LBB6_4
.LBB6_3:                                ;   in Loop: Header=BB6_4 Depth=1
	s_wait_xcnt 0x0
	s_or_b32 exec_lo, exec_lo, s8
	v_add_nc_u32_e32 v0, s0, v0
	s_delay_alu instid0(VALU_DEP_1) | instskip(SKIP_1) | instid1(SALU_CYCLE_1)
	v_cmp_le_u32_e32 vcc_lo, s16, v0
	s_or_b32 s1, vcc_lo, s1
	s_and_not1_b32 exec_lo, exec_lo, s1
	s_cbranch_execz .LBB6_15
.LBB6_4:                                ; =>This Inner Loop Header: Depth=1
	v_mul_u64_e32 v[6:7], s[6:7], v[0:1]
	s_mov_b32 s8, exec_lo
	s_delay_alu instid0(VALU_DEP_1)
	v_lshl_add_u64 v[6:7], v[6:7], 1, s[4:5]
	global_load_u16 v6, v[6:7], off
	s_wait_loadcnt 0x0
	s_wait_xcnt 0x0
	v_cmpx_neq_f16_e32 0, v6
	s_cbranch_execz .LBB6_6
; %bb.5:                                ;   in Loop: Header=BB6_4 Depth=1
	v_mul_u64_e32 v[8:9], s[2:3], v[0:1]
	v_mul_u64_e32 v[10:11], s[12:13], v[0:1]
	s_delay_alu instid0(VALU_DEP_2) | instskip(NEXT) | instid1(VALU_DEP_2)
	v_lshl_add_u64 v[8:9], v[8:9], 1, v[4:5]
	v_lshl_add_u64 v[10:11], v[10:11], 1, v[2:3]
	global_load_u16 v7, v[8:9], off
	global_load_u16 v12, v[10:11], off
	s_wait_loadcnt 0x0
	v_fmac_f16_e32 v7, v6, v12
	global_store_b16 v[8:9], v7, off
.LBB6_6:                                ;   in Loop: Header=BB6_4 Depth=1
	s_wait_xcnt 0x0
	s_or_b32 exec_lo, exec_lo, s8
	v_add_nc_u32_e32 v6, 1, v0
	s_mov_b32 s8, exec_lo
	s_delay_alu instid0(VALU_DEP_1)
	v_cmpx_gt_u32_e64 s16, v6
	s_cbranch_execz .LBB6_9
; %bb.7:                                ;   in Loop: Header=BB6_4 Depth=1
	v_mov_b32_e32 v7, v1
	s_delay_alu instid0(VALU_DEP_1) | instskip(NEXT) | instid1(VALU_DEP_1)
	v_mul_u64_e32 v[8:9], s[6:7], v[6:7]
	v_lshl_add_u64 v[8:9], v[8:9], 1, s[4:5]
	global_load_u16 v8, v[8:9], off
	s_wait_loadcnt 0x0
	v_cmp_neq_f16_e32 vcc_lo, 0, v8
	s_wait_xcnt 0x0
	s_and_b32 exec_lo, exec_lo, vcc_lo
	s_cbranch_execz .LBB6_9
; %bb.8:                                ;   in Loop: Header=BB6_4 Depth=1
	v_mul_u64_e32 v[10:11], s[2:3], v[6:7]
	v_mul_u64_e32 v[6:7], s[12:13], v[6:7]
	s_delay_alu instid0(VALU_DEP_2) | instskip(NEXT) | instid1(VALU_DEP_2)
	v_lshl_add_u64 v[10:11], v[10:11], 1, v[4:5]
	v_lshl_add_u64 v[6:7], v[6:7], 1, v[2:3]
	global_load_u16 v9, v[10:11], off
	global_load_u16 v12, v[6:7], off
	s_wait_loadcnt 0x0
	v_fmac_f16_e32 v9, v8, v12
	global_store_b16 v[10:11], v9, off
.LBB6_9:                                ;   in Loop: Header=BB6_4 Depth=1
	s_wait_xcnt 0x0
	s_or_b32 exec_lo, exec_lo, s8
	v_add_nc_u32_e32 v6, 2, v0
	s_mov_b32 s8, exec_lo
	s_delay_alu instid0(VALU_DEP_1)
	v_cmpx_gt_u32_e64 s16, v6
	s_cbranch_execz .LBB6_12
; %bb.10:                               ;   in Loop: Header=BB6_4 Depth=1
	v_mov_b32_e32 v7, v1
	s_delay_alu instid0(VALU_DEP_1) | instskip(NEXT) | instid1(VALU_DEP_1)
	v_mul_u64_e32 v[8:9], s[6:7], v[6:7]
	v_lshl_add_u64 v[8:9], v[8:9], 1, s[4:5]
	global_load_u16 v8, v[8:9], off
	s_wait_loadcnt 0x0
	v_cmp_neq_f16_e32 vcc_lo, 0, v8
	s_wait_xcnt 0x0
	s_and_b32 exec_lo, exec_lo, vcc_lo
	s_cbranch_execz .LBB6_12
; %bb.11:                               ;   in Loop: Header=BB6_4 Depth=1
	v_mul_u64_e32 v[10:11], s[2:3], v[6:7]
	v_mul_u64_e32 v[6:7], s[12:13], v[6:7]
	s_delay_alu instid0(VALU_DEP_2) | instskip(NEXT) | instid1(VALU_DEP_2)
	v_lshl_add_u64 v[10:11], v[10:11], 1, v[4:5]
	v_lshl_add_u64 v[6:7], v[6:7], 1, v[2:3]
	global_load_u16 v9, v[10:11], off
	global_load_u16 v12, v[6:7], off
	s_wait_loadcnt 0x0
	v_fmac_f16_e32 v9, v8, v12
	global_store_b16 v[10:11], v9, off
.LBB6_12:                               ;   in Loop: Header=BB6_4 Depth=1
	s_wait_xcnt 0x0
	s_or_b32 exec_lo, exec_lo, s8
	v_add_nc_u32_e32 v6, 3, v0
	s_mov_b32 s8, exec_lo
	s_delay_alu instid0(VALU_DEP_1)
	v_cmpx_gt_u32_e64 s16, v6
	s_cbranch_execz .LBB6_3
; %bb.13:                               ;   in Loop: Header=BB6_4 Depth=1
	v_mov_b32_e32 v7, v1
	s_delay_alu instid0(VALU_DEP_1) | instskip(NEXT) | instid1(VALU_DEP_1)
	v_mul_u64_e32 v[8:9], s[6:7], v[6:7]
	v_lshl_add_u64 v[8:9], v[8:9], 1, s[4:5]
	global_load_u16 v8, v[8:9], off
	s_wait_loadcnt 0x0
	v_cmp_neq_f16_e32 vcc_lo, 0, v8
	s_wait_xcnt 0x0
	s_and_b32 exec_lo, exec_lo, vcc_lo
	s_cbranch_execz .LBB6_3
; %bb.14:                               ;   in Loop: Header=BB6_4 Depth=1
	v_mul_u64_e32 v[10:11], s[2:3], v[6:7]
	v_mul_u64_e32 v[6:7], s[12:13], v[6:7]
	s_delay_alu instid0(VALU_DEP_2) | instskip(NEXT) | instid1(VALU_DEP_2)
	v_lshl_add_u64 v[10:11], v[10:11], 1, v[4:5]
	v_lshl_add_u64 v[6:7], v[6:7], 1, v[2:3]
	global_load_u16 v9, v[10:11], off
	global_load_u16 v12, v[6:7], off
	s_wait_loadcnt 0x0
	v_fmac_f16_e32 v9, v8, v12
	global_store_b16 v[10:11], v9, off
	s_branch .LBB6_3
.LBB6_15:
	s_endpgm
	.section	.rodata,"a",@progbits
	.p2align	6, 0x0
	.amdhsa_kernel _ZL27rocblas_axpy_kernel_batchedIiLi128ELi8EDF16_PKDF16_S1_PDF16_EviT3_lT4_lT_lT5_lS5_li
		.amdhsa_group_segment_fixed_size 0
		.amdhsa_private_segment_fixed_size 0
		.amdhsa_kernarg_size 352
		.amdhsa_user_sgpr_count 2
		.amdhsa_user_sgpr_dispatch_ptr 0
		.amdhsa_user_sgpr_queue_ptr 0
		.amdhsa_user_sgpr_kernarg_segment_ptr 1
		.amdhsa_user_sgpr_dispatch_id 0
		.amdhsa_user_sgpr_kernarg_preload_length 0
		.amdhsa_user_sgpr_kernarg_preload_offset 0
		.amdhsa_user_sgpr_private_segment_size 0
		.amdhsa_wavefront_size32 1
		.amdhsa_uses_dynamic_stack 0
		.amdhsa_enable_private_segment 0
		.amdhsa_system_sgpr_workgroup_id_x 1
		.amdhsa_system_sgpr_workgroup_id_y 0
		.amdhsa_system_sgpr_workgroup_id_z 1
		.amdhsa_system_sgpr_workgroup_info 0
		.amdhsa_system_vgpr_workitem_id 1
		.amdhsa_next_free_vgpr 13
		.amdhsa_next_free_sgpr 23
		.amdhsa_named_barrier_count 0
		.amdhsa_reserve_vcc 1
		.amdhsa_float_round_mode_32 0
		.amdhsa_float_round_mode_16_64 0
		.amdhsa_float_denorm_mode_32 3
		.amdhsa_float_denorm_mode_16_64 3
		.amdhsa_fp16_overflow 0
		.amdhsa_memory_ordered 1
		.amdhsa_forward_progress 1
		.amdhsa_inst_pref_size 8
		.amdhsa_round_robin_scheduling 0
		.amdhsa_exception_fp_ieee_invalid_op 0
		.amdhsa_exception_fp_denorm_src 0
		.amdhsa_exception_fp_ieee_div_zero 0
		.amdhsa_exception_fp_ieee_overflow 0
		.amdhsa_exception_fp_ieee_underflow 0
		.amdhsa_exception_fp_ieee_inexact 0
		.amdhsa_exception_int_div_zero 0
	.end_amdhsa_kernel
	.section	.text._ZL27rocblas_axpy_kernel_batchedIiLi128ELi8EDF16_PKDF16_S1_PDF16_EviT3_lT4_lT_lT5_lS5_li,"axG",@progbits,_ZL27rocblas_axpy_kernel_batchedIiLi128ELi8EDF16_PKDF16_S1_PDF16_EviT3_lT4_lT_lT5_lS5_li,comdat
.Lfunc_end6:
	.size	_ZL27rocblas_axpy_kernel_batchedIiLi128ELi8EDF16_PKDF16_S1_PDF16_EviT3_lT4_lT_lT5_lS5_li, .Lfunc_end6-_ZL27rocblas_axpy_kernel_batchedIiLi128ELi8EDF16_PKDF16_S1_PDF16_EviT3_lT4_lT_lT5_lS5_li
                                        ; -- End function
	.set _ZL27rocblas_axpy_kernel_batchedIiLi128ELi8EDF16_PKDF16_S1_PDF16_EviT3_lT4_lT_lT5_lS5_li.num_vgpr, 13
	.set _ZL27rocblas_axpy_kernel_batchedIiLi128ELi8EDF16_PKDF16_S1_PDF16_EviT3_lT4_lT_lT5_lS5_li.num_agpr, 0
	.set _ZL27rocblas_axpy_kernel_batchedIiLi128ELi8EDF16_PKDF16_S1_PDF16_EviT3_lT4_lT_lT5_lS5_li.numbered_sgpr, 23
	.set _ZL27rocblas_axpy_kernel_batchedIiLi128ELi8EDF16_PKDF16_S1_PDF16_EviT3_lT4_lT_lT5_lS5_li.num_named_barrier, 0
	.set _ZL27rocblas_axpy_kernel_batchedIiLi128ELi8EDF16_PKDF16_S1_PDF16_EviT3_lT4_lT_lT5_lS5_li.private_seg_size, 0
	.set _ZL27rocblas_axpy_kernel_batchedIiLi128ELi8EDF16_PKDF16_S1_PDF16_EviT3_lT4_lT_lT5_lS5_li.uses_vcc, 1
	.set _ZL27rocblas_axpy_kernel_batchedIiLi128ELi8EDF16_PKDF16_S1_PDF16_EviT3_lT4_lT_lT5_lS5_li.uses_flat_scratch, 0
	.set _ZL27rocblas_axpy_kernel_batchedIiLi128ELi8EDF16_PKDF16_S1_PDF16_EviT3_lT4_lT_lT5_lS5_li.has_dyn_sized_stack, 0
	.set _ZL27rocblas_axpy_kernel_batchedIiLi128ELi8EDF16_PKDF16_S1_PDF16_EviT3_lT4_lT_lT5_lS5_li.has_recursion, 0
	.set _ZL27rocblas_axpy_kernel_batchedIiLi128ELi8EDF16_PKDF16_S1_PDF16_EviT3_lT4_lT_lT5_lS5_li.has_indirect_call, 0
	.section	.AMDGPU.csdata,"",@progbits
; Kernel info:
; codeLenInByte = 944
; TotalNumSgprs: 25
; NumVgprs: 13
; ScratchSize: 0
; MemoryBound: 0
; FloatMode: 240
; IeeeMode: 1
; LDSByteSize: 0 bytes/workgroup (compile time only)
; SGPRBlocks: 0
; VGPRBlocks: 0
; NumSGPRsForWavesPerEU: 25
; NumVGPRsForWavesPerEU: 13
; NamedBarCnt: 0
; Occupancy: 16
; WaveLimiterHint : 0
; COMPUTE_PGM_RSRC2:SCRATCH_EN: 0
; COMPUTE_PGM_RSRC2:USER_SGPR: 2
; COMPUTE_PGM_RSRC2:TRAP_HANDLER: 0
; COMPUTE_PGM_RSRC2:TGID_X_EN: 1
; COMPUTE_PGM_RSRC2:TGID_Y_EN: 0
; COMPUTE_PGM_RSRC2:TGID_Z_EN: 1
; COMPUTE_PGM_RSRC2:TIDIG_COMP_CNT: 1
	.section	.text._ZL27rocblas_axpy_kernel_batchedIiLi128ELi8EDF16_DF16_PKDF16_PDF16_EviT3_lT4_lT_lT5_lS5_li,"axG",@progbits,_ZL27rocblas_axpy_kernel_batchedIiLi128ELi8EDF16_DF16_PKDF16_PDF16_EviT3_lT4_lT_lT5_lS5_li,comdat
	.globl	_ZL27rocblas_axpy_kernel_batchedIiLi128ELi8EDF16_DF16_PKDF16_PDF16_EviT3_lT4_lT_lT5_lS5_li ; -- Begin function _ZL27rocblas_axpy_kernel_batchedIiLi128ELi8EDF16_DF16_PKDF16_PDF16_EviT3_lT4_lT_lT5_lS5_li
	.p2align	8
	.type	_ZL27rocblas_axpy_kernel_batchedIiLi128ELi8EDF16_DF16_PKDF16_PDF16_EviT3_lT4_lT_lT5_lS5_li,@function
_ZL27rocblas_axpy_kernel_batchedIiLi128ELi8EDF16_DF16_PKDF16_PDF16_EviT3_lT4_lT_lT5_lS5_li: ; @_ZL27rocblas_axpy_kernel_batchedIiLi128ELi8EDF16_DF16_PKDF16_PDF16_EviT3_lT4_lT_lT5_lS5_li
; %bb.0:
	s_load_b64 s[2:3], s[0:1], 0x0
	s_bfe_u32 s4, ttmp6, 0x4000c
	s_and_b32 s5, ttmp6, 15
	s_add_co_i32 s6, s4, 1
	s_getreg_b32 s4, hwreg(HW_REG_IB_STS2, 6, 4)
	s_mul_i32 s6, ttmp9, s6
	v_and_b32_e32 v1, 0x3ff, v0
	s_add_co_i32 s5, s5, s6
	s_cmp_eq_u32 s4, 0
	v_mov_b32_e32 v3, 0
	s_cselect_b32 s5, ttmp9, s5
	s_delay_alu instid0(SALU_CYCLE_1)
	v_lshl_add_u32 v2, s5, 7, v1
	s_wait_kmcnt 0x0
	s_ashr_i32 s7, s2, 31
	s_mov_b32 s6, s2
	s_mov_b32 s2, exec_lo
	v_cmpx_gt_i64_e64 s[6:7], v[2:3]
	s_cbranch_execz .LBB7_12
; %bb.1:
	s_load_b32 s2, s[0:1], 0x50
	s_bfe_u32 s5, ttmp6, 0x40014
	v_lshrrev_b32_e32 v0, 8, v0
	s_lshr_b32 s6, ttmp7, 16
	s_add_co_i32 s5, s5, 1
	s_bfe_u32 s7, ttmp6, 0x40008
	s_mul_i32 s5, s6, s5
	v_and_b32_e32 v0, 0xffc, v0
	s_add_co_i32 s7, s7, s5
	s_cmp_eq_u32 s4, 0
	s_cselect_b32 s4, s6, s7
	s_delay_alu instid0(VALU_DEP_1) | instid1(SALU_CYCLE_1)
	v_lshl_add_u32 v0, s4, 5, v0
	s_wait_kmcnt 0x0
	s_delay_alu instid0(VALU_DEP_1)
	v_cmp_gt_u32_e32 vcc_lo, s2, v0
	s_and_b32 exec_lo, exec_lo, vcc_lo
	s_cbranch_execz .LBB7_12
; %bb.2:
	s_clause 0x1
	s_load_b32 s4, s[0:1], 0x20
	s_load_b96 s[16:18], s[0:1], 0x38
	v_mov_b32_e32 v1, 0
	s_wait_kmcnt 0x0
	s_ashr_i32 s5, s4, 31
	s_ashr_i32 s7, s18, 31
	s_mov_b32 s6, s18
	v_mul_u64_e32 v[4:5], s[4:5], v[2:3]
	v_mul_u64_e32 v[6:7], s[6:7], v[2:3]
	s_clause 0x3
	s_load_b128 s[12:15], s[0:1], 0x10
	s_load_b128 s[4:7], s[0:1], 0x28
	s_load_b32 s18, s[0:1], 0x60
	s_load_b64 s[8:9], s[0:1], 0x48
	s_cmp_neq_f16 s3, 0
	s_wait_xcnt 0x0
	s_mov_b32 s1, 0
	s_cselect_b32 s0, -1, 0
	s_wait_kmcnt 0x0
	s_lshl_b64 s[10:11], s[14:15], 1
	s_lshl_b64 s[14:15], s[16:17], 1
	s_add_nc_u64 s[10:11], s[12:13], s[10:11]
	s_add_nc_u64 s[6:7], s[6:7], s[14:15]
	s_delay_alu instid0(VALU_DEP_2) | instskip(NEXT) | instid1(VALU_DEP_2)
	v_lshl_add_u64 v[2:3], v[4:5], 1, s[10:11]
	v_lshl_add_u64 v[4:5], v[6:7], 1, s[6:7]
	s_lshl_b32 s6, s18, 5
	s_branch .LBB7_4
.LBB7_3:                                ;   in Loop: Header=BB7_4 Depth=1
	s_wait_xcnt 0x0
	s_or_b32 exec_lo, exec_lo, s7
	v_add_nc_u32_e32 v0, s6, v0
	s_delay_alu instid0(VALU_DEP_1) | instskip(SKIP_1) | instid1(SALU_CYCLE_1)
	v_cmp_le_u32_e32 vcc_lo, s2, v0
	s_or_b32 s1, vcc_lo, s1
	s_and_not1_b32 exec_lo, exec_lo, s1
	s_cbranch_execz .LBB7_12
.LBB7_4:                                ; =>This Inner Loop Header: Depth=1
	s_and_not1_b32 vcc_lo, exec_lo, s0
	s_cbranch_vccnz .LBB7_6
; %bb.5:                                ;   in Loop: Header=BB7_4 Depth=1
	v_mul_u64_e32 v[6:7], s[8:9], v[0:1]
	v_mul_u64_e32 v[8:9], s[4:5], v[0:1]
	s_delay_alu instid0(VALU_DEP_2) | instskip(NEXT) | instid1(VALU_DEP_2)
	v_lshl_add_u64 v[6:7], v[6:7], 1, v[4:5]
	v_lshl_add_u64 v[8:9], v[8:9], 1, v[2:3]
	global_load_u16 v10, v[6:7], off
	global_load_u16 v11, v[8:9], off
	s_wait_loadcnt 0x0
	v_fmac_f16_e32 v10, s3, v11
	global_store_b16 v[6:7], v10, off
.LBB7_6:                                ;   in Loop: Header=BB7_4 Depth=1
	s_wait_xcnt 0x0
	v_add_nc_u32_e32 v6, 1, v0
	s_delay_alu instid0(VALU_DEP_1) | instskip(SKIP_1) | instid1(SALU_CYCLE_1)
	v_cmp_gt_u32_e32 vcc_lo, s2, v6
	s_and_b32 s10, s0, vcc_lo
	s_and_saveexec_b32 s7, s10
	s_cbranch_execz .LBB7_8
; %bb.7:                                ;   in Loop: Header=BB7_4 Depth=1
	v_mov_b32_e32 v7, v1
	s_delay_alu instid0(VALU_DEP_1) | instskip(SKIP_1) | instid1(VALU_DEP_2)
	v_mul_u64_e32 v[8:9], s[8:9], v[6:7]
	v_mul_u64_e32 v[6:7], s[4:5], v[6:7]
	v_lshl_add_u64 v[8:9], v[8:9], 1, v[4:5]
	s_delay_alu instid0(VALU_DEP_2)
	v_lshl_add_u64 v[6:7], v[6:7], 1, v[2:3]
	global_load_u16 v10, v[8:9], off
	global_load_u16 v11, v[6:7], off
	s_wait_loadcnt 0x0
	v_fmac_f16_e32 v10, s3, v11
	global_store_b16 v[8:9], v10, off
.LBB7_8:                                ;   in Loop: Header=BB7_4 Depth=1
	s_wait_xcnt 0x0
	s_or_b32 exec_lo, exec_lo, s7
	v_add_nc_u32_e32 v6, 2, v0
	s_delay_alu instid0(VALU_DEP_1) | instskip(SKIP_1) | instid1(SALU_CYCLE_1)
	v_cmp_gt_u32_e32 vcc_lo, s2, v6
	s_and_b32 s10, s0, vcc_lo
	s_and_saveexec_b32 s7, s10
	s_cbranch_execz .LBB7_10
; %bb.9:                                ;   in Loop: Header=BB7_4 Depth=1
	v_mov_b32_e32 v7, v1
	s_delay_alu instid0(VALU_DEP_1) | instskip(SKIP_1) | instid1(VALU_DEP_2)
	v_mul_u64_e32 v[8:9], s[8:9], v[6:7]
	v_mul_u64_e32 v[6:7], s[4:5], v[6:7]
	v_lshl_add_u64 v[8:9], v[8:9], 1, v[4:5]
	s_delay_alu instid0(VALU_DEP_2)
	v_lshl_add_u64 v[6:7], v[6:7], 1, v[2:3]
	global_load_u16 v10, v[8:9], off
	global_load_u16 v11, v[6:7], off
	s_wait_loadcnt 0x0
	v_fmac_f16_e32 v10, s3, v11
	global_store_b16 v[8:9], v10, off
.LBB7_10:                               ;   in Loop: Header=BB7_4 Depth=1
	s_wait_xcnt 0x0
	s_or_b32 exec_lo, exec_lo, s7
	v_add_nc_u32_e32 v6, 3, v0
	s_delay_alu instid0(VALU_DEP_1) | instskip(SKIP_1) | instid1(SALU_CYCLE_1)
	v_cmp_gt_u32_e32 vcc_lo, s2, v6
	s_and_b32 s10, s0, vcc_lo
	s_and_saveexec_b32 s7, s10
	s_cbranch_execz .LBB7_3
; %bb.11:                               ;   in Loop: Header=BB7_4 Depth=1
	v_mov_b32_e32 v7, v1
	s_delay_alu instid0(VALU_DEP_1) | instskip(SKIP_1) | instid1(VALU_DEP_2)
	v_mul_u64_e32 v[8:9], s[8:9], v[6:7]
	v_mul_u64_e32 v[6:7], s[4:5], v[6:7]
	v_lshl_add_u64 v[8:9], v[8:9], 1, v[4:5]
	s_delay_alu instid0(VALU_DEP_2)
	v_lshl_add_u64 v[6:7], v[6:7], 1, v[2:3]
	global_load_u16 v10, v[8:9], off
	global_load_u16 v11, v[6:7], off
	s_wait_loadcnt 0x0
	v_fmac_f16_e32 v10, s3, v11
	global_store_b16 v[8:9], v10, off
	s_branch .LBB7_3
.LBB7_12:
	s_endpgm
	.section	.rodata,"a",@progbits
	.p2align	6, 0x0
	.amdhsa_kernel _ZL27rocblas_axpy_kernel_batchedIiLi128ELi8EDF16_DF16_PKDF16_PDF16_EviT3_lT4_lT_lT5_lS5_li
		.amdhsa_group_segment_fixed_size 0
		.amdhsa_private_segment_fixed_size 0
		.amdhsa_kernarg_size 344
		.amdhsa_user_sgpr_count 2
		.amdhsa_user_sgpr_dispatch_ptr 0
		.amdhsa_user_sgpr_queue_ptr 0
		.amdhsa_user_sgpr_kernarg_segment_ptr 1
		.amdhsa_user_sgpr_dispatch_id 0
		.amdhsa_user_sgpr_kernarg_preload_length 0
		.amdhsa_user_sgpr_kernarg_preload_offset 0
		.amdhsa_user_sgpr_private_segment_size 0
		.amdhsa_wavefront_size32 1
		.amdhsa_uses_dynamic_stack 0
		.amdhsa_enable_private_segment 0
		.amdhsa_system_sgpr_workgroup_id_x 1
		.amdhsa_system_sgpr_workgroup_id_y 0
		.amdhsa_system_sgpr_workgroup_id_z 1
		.amdhsa_system_sgpr_workgroup_info 0
		.amdhsa_system_vgpr_workitem_id 1
		.amdhsa_next_free_vgpr 12
		.amdhsa_next_free_sgpr 19
		.amdhsa_named_barrier_count 0
		.amdhsa_reserve_vcc 1
		.amdhsa_float_round_mode_32 0
		.amdhsa_float_round_mode_16_64 0
		.amdhsa_float_denorm_mode_32 3
		.amdhsa_float_denorm_mode_16_64 3
		.amdhsa_fp16_overflow 0
		.amdhsa_memory_ordered 1
		.amdhsa_forward_progress 1
		.amdhsa_inst_pref_size 7
		.amdhsa_round_robin_scheduling 0
		.amdhsa_exception_fp_ieee_invalid_op 0
		.amdhsa_exception_fp_denorm_src 0
		.amdhsa_exception_fp_ieee_div_zero 0
		.amdhsa_exception_fp_ieee_overflow 0
		.amdhsa_exception_fp_ieee_underflow 0
		.amdhsa_exception_fp_ieee_inexact 0
		.amdhsa_exception_int_div_zero 0
	.end_amdhsa_kernel
	.section	.text._ZL27rocblas_axpy_kernel_batchedIiLi128ELi8EDF16_DF16_PKDF16_PDF16_EviT3_lT4_lT_lT5_lS5_li,"axG",@progbits,_ZL27rocblas_axpy_kernel_batchedIiLi128ELi8EDF16_DF16_PKDF16_PDF16_EviT3_lT4_lT_lT5_lS5_li,comdat
.Lfunc_end7:
	.size	_ZL27rocblas_axpy_kernel_batchedIiLi128ELi8EDF16_DF16_PKDF16_PDF16_EviT3_lT4_lT_lT5_lS5_li, .Lfunc_end7-_ZL27rocblas_axpy_kernel_batchedIiLi128ELi8EDF16_DF16_PKDF16_PDF16_EviT3_lT4_lT_lT5_lS5_li
                                        ; -- End function
	.set _ZL27rocblas_axpy_kernel_batchedIiLi128ELi8EDF16_DF16_PKDF16_PDF16_EviT3_lT4_lT_lT5_lS5_li.num_vgpr, 12
	.set _ZL27rocblas_axpy_kernel_batchedIiLi128ELi8EDF16_DF16_PKDF16_PDF16_EviT3_lT4_lT_lT5_lS5_li.num_agpr, 0
	.set _ZL27rocblas_axpy_kernel_batchedIiLi128ELi8EDF16_DF16_PKDF16_PDF16_EviT3_lT4_lT_lT5_lS5_li.numbered_sgpr, 19
	.set _ZL27rocblas_axpy_kernel_batchedIiLi128ELi8EDF16_DF16_PKDF16_PDF16_EviT3_lT4_lT_lT5_lS5_li.num_named_barrier, 0
	.set _ZL27rocblas_axpy_kernel_batchedIiLi128ELi8EDF16_DF16_PKDF16_PDF16_EviT3_lT4_lT_lT5_lS5_li.private_seg_size, 0
	.set _ZL27rocblas_axpy_kernel_batchedIiLi128ELi8EDF16_DF16_PKDF16_PDF16_EviT3_lT4_lT_lT5_lS5_li.uses_vcc, 1
	.set _ZL27rocblas_axpy_kernel_batchedIiLi128ELi8EDF16_DF16_PKDF16_PDF16_EviT3_lT4_lT_lT5_lS5_li.uses_flat_scratch, 0
	.set _ZL27rocblas_axpy_kernel_batchedIiLi128ELi8EDF16_DF16_PKDF16_PDF16_EviT3_lT4_lT_lT5_lS5_li.has_dyn_sized_stack, 0
	.set _ZL27rocblas_axpy_kernel_batchedIiLi128ELi8EDF16_DF16_PKDF16_PDF16_EviT3_lT4_lT_lT5_lS5_li.has_recursion, 0
	.set _ZL27rocblas_axpy_kernel_batchedIiLi128ELi8EDF16_DF16_PKDF16_PDF16_EviT3_lT4_lT_lT5_lS5_li.has_indirect_call, 0
	.section	.AMDGPU.csdata,"",@progbits
; Kernel info:
; codeLenInByte = 788
; TotalNumSgprs: 21
; NumVgprs: 12
; ScratchSize: 0
; MemoryBound: 0
; FloatMode: 240
; IeeeMode: 1
; LDSByteSize: 0 bytes/workgroup (compile time only)
; SGPRBlocks: 0
; VGPRBlocks: 0
; NumSGPRsForWavesPerEU: 21
; NumVGPRsForWavesPerEU: 12
; NamedBarCnt: 0
; Occupancy: 16
; WaveLimiterHint : 0
; COMPUTE_PGM_RSRC2:SCRATCH_EN: 0
; COMPUTE_PGM_RSRC2:USER_SGPR: 2
; COMPUTE_PGM_RSRC2:TRAP_HANDLER: 0
; COMPUTE_PGM_RSRC2:TGID_X_EN: 1
; COMPUTE_PGM_RSRC2:TGID_Y_EN: 0
; COMPUTE_PGM_RSRC2:TGID_Z_EN: 1
; COMPUTE_PGM_RSRC2:TIDIG_COMP_CNT: 1
	.section	.text._ZL19rocblas_axpy_kernelIiLi256EDF16_PKDF16_S1_PDF16_EviT2_lT3_lT_lT4_lS5_li,"axG",@progbits,_ZL19rocblas_axpy_kernelIiLi256EDF16_PKDF16_S1_PDF16_EviT2_lT3_lT_lT4_lS5_li,comdat
	.globl	_ZL19rocblas_axpy_kernelIiLi256EDF16_PKDF16_S1_PDF16_EviT2_lT3_lT_lT4_lS5_li ; -- Begin function _ZL19rocblas_axpy_kernelIiLi256EDF16_PKDF16_S1_PDF16_EviT2_lT3_lT_lT4_lS5_li
	.p2align	8
	.type	_ZL19rocblas_axpy_kernelIiLi256EDF16_PKDF16_S1_PDF16_EviT2_lT3_lT_lT4_lS5_li,@function
_ZL19rocblas_axpy_kernelIiLi256EDF16_PKDF16_S1_PDF16_EviT2_lT3_lT_lT4_lS5_li: ; @_ZL19rocblas_axpy_kernelIiLi256EDF16_PKDF16_S1_PDF16_EviT2_lT3_lT_lT4_lS5_li
; %bb.0:
	s_load_b32 s18, s[0:1], 0x58
	s_bfe_u32 s2, ttmp6, 0x40014
	s_lshr_b32 s3, ttmp7, 16
	s_add_co_i32 s2, s2, 1
	s_bfe_u32 s4, ttmp6, 0x40008
	s_mul_i32 s2, s3, s2
	s_getreg_b32 s12, hwreg(HW_REG_IB_STS2, 6, 4)
	s_add_co_i32 s4, s4, s2
	s_cmp_eq_u32 s12, 0
	s_cselect_b32 s2, s3, s4
	s_mov_b32 s3, 0
	s_wait_kmcnt 0x0
	s_cmp_ge_u32 s2, s18
	s_cbranch_scc1 .LBB8_5
; %bb.1:
	s_clause 0x3
	s_load_b32 s24, s[0:1], 0x0
	s_load_b32 s14, s[0:1], 0x28
	s_load_b96 s[20:22], s[0:1], 0x40
	s_load_b256 s[4:11], s[0:1], 0x8
	s_bfe_u32 s13, ttmp6, 0x4000c
	s_and_b32 s15, ttmp6, 15
	s_add_co_i32 s13, s13, 1
	v_mov_b32_e32 v1, 0
	s_mul_i32 s13, ttmp9, s13
	s_load_b64 s[16:17], s[0:1], 0x50
	s_add_co_i32 s19, s15, s13
	s_wait_kmcnt 0x0
	s_ashr_i32 s25, s24, 31
	s_ashr_i32 s15, s14, 31
	;; [unrolled: 1-line block ×3, first 2 shown]
	s_lshl_b64 s[20:21], s[20:21], 1
	s_lshl_b64 s[10:11], s[10:11], 1
	s_cmp_eq_u32 s12, 0
	s_add_nc_u64 s[8:9], s[8:9], s[10:11]
	s_cselect_b32 s12, ttmp9, s19
	s_delay_alu instid0(SALU_CYCLE_1) | instskip(SKIP_1) | instid1(VALU_DEP_1)
	v_lshl_or_b32 v0, s12, 8, v0
	s_mov_b32 s12, s22
	v_mul_u64_e32 v[2:3], s[14:15], v[0:1]
	v_mul_u64_e32 v[4:5], s[12:13], v[0:1]
	s_load_b128 s[12:15], s[0:1], 0x30
	v_cmp_gt_i64_e32 vcc_lo, s[24:25], v[0:1]
	s_wait_kmcnt 0x0
	s_add_nc_u64 s[0:1], s[14:15], s[20:21]
	s_delay_alu instid0(VALU_DEP_3) | instskip(NEXT) | instid1(VALU_DEP_3)
	v_lshl_add_u64 v[2:3], v[2:3], 1, s[8:9]
	v_lshl_add_u64 v[4:5], v[4:5], 1, s[0:1]
	s_branch .LBB8_3
.LBB8_2:                                ;   in Loop: Header=BB8_3 Depth=1
	s_wait_xcnt 0x0
	s_or_b32 exec_lo, exec_lo, s0
	s_add_co_i32 s2, s2, 0x10000
	s_delay_alu instid0(SALU_CYCLE_1)
	s_cmp_lt_u32 s2, s18
	s_cbranch_scc0 .LBB8_5
.LBB8_3:                                ; =>This Inner Loop Header: Depth=1
	s_mul_u64 s[0:1], s[6:7], s[2:3]
	s_delay_alu instid0(SALU_CYCLE_1) | instskip(NEXT) | instid1(SALU_CYCLE_1)
	s_lshl_b64 s[0:1], s[0:1], 1
	s_add_nc_u64 s[0:1], s[4:5], s[0:1]
	global_load_u16 v0, v1, s[0:1]
	s_wait_loadcnt 0x0
	s_wait_xcnt 0x0
	v_readfirstlane_b32 s0, v0
	s_cmp_neq_f16 s0, 0
	s_cselect_b32 s0, -1, 0
	s_delay_alu instid0(SALU_CYCLE_1) | instskip(NEXT) | instid1(SALU_CYCLE_1)
	s_and_b32 s1, vcc_lo, s0
	s_and_saveexec_b32 s0, s1
	s_cbranch_execz .LBB8_2
; %bb.4:                                ;   in Loop: Header=BB8_3 Depth=1
	s_mul_u64 s[8:9], s[16:17], s[2:3]
	s_mul_u64 s[10:11], s[12:13], s[2:3]
	v_lshl_add_u64 v[6:7], s[8:9], 1, v[4:5]
	v_lshl_add_u64 v[8:9], s[10:11], 1, v[2:3]
	global_load_u16 v10, v[6:7], off
	global_load_u16 v11, v[8:9], off
	s_wait_loadcnt 0x0
	v_fmac_f16_e32 v10, v0, v11
	global_store_b16 v[6:7], v10, off
	s_branch .LBB8_2
.LBB8_5:
	s_endpgm
	.section	.rodata,"a",@progbits
	.p2align	6, 0x0
	.amdhsa_kernel _ZL19rocblas_axpy_kernelIiLi256EDF16_PKDF16_S1_PDF16_EviT2_lT3_lT_lT4_lS5_li
		.amdhsa_group_segment_fixed_size 0
		.amdhsa_private_segment_fixed_size 0
		.amdhsa_kernarg_size 92
		.amdhsa_user_sgpr_count 2
		.amdhsa_user_sgpr_dispatch_ptr 0
		.amdhsa_user_sgpr_queue_ptr 0
		.amdhsa_user_sgpr_kernarg_segment_ptr 1
		.amdhsa_user_sgpr_dispatch_id 0
		.amdhsa_user_sgpr_kernarg_preload_length 0
		.amdhsa_user_sgpr_kernarg_preload_offset 0
		.amdhsa_user_sgpr_private_segment_size 0
		.amdhsa_wavefront_size32 1
		.amdhsa_uses_dynamic_stack 0
		.amdhsa_enable_private_segment 0
		.amdhsa_system_sgpr_workgroup_id_x 1
		.amdhsa_system_sgpr_workgroup_id_y 0
		.amdhsa_system_sgpr_workgroup_id_z 1
		.amdhsa_system_sgpr_workgroup_info 0
		.amdhsa_system_vgpr_workitem_id 0
		.amdhsa_next_free_vgpr 12
		.amdhsa_next_free_sgpr 26
		.amdhsa_named_barrier_count 0
		.amdhsa_reserve_vcc 1
		.amdhsa_float_round_mode_32 0
		.amdhsa_float_round_mode_16_64 0
		.amdhsa_float_denorm_mode_32 3
		.amdhsa_float_denorm_mode_16_64 3
		.amdhsa_fp16_overflow 0
		.amdhsa_memory_ordered 1
		.amdhsa_forward_progress 1
		.amdhsa_inst_pref_size 4
		.amdhsa_round_robin_scheduling 0
		.amdhsa_exception_fp_ieee_invalid_op 0
		.amdhsa_exception_fp_denorm_src 0
		.amdhsa_exception_fp_ieee_div_zero 0
		.amdhsa_exception_fp_ieee_overflow 0
		.amdhsa_exception_fp_ieee_underflow 0
		.amdhsa_exception_fp_ieee_inexact 0
		.amdhsa_exception_int_div_zero 0
	.end_amdhsa_kernel
	.section	.text._ZL19rocblas_axpy_kernelIiLi256EDF16_PKDF16_S1_PDF16_EviT2_lT3_lT_lT4_lS5_li,"axG",@progbits,_ZL19rocblas_axpy_kernelIiLi256EDF16_PKDF16_S1_PDF16_EviT2_lT3_lT_lT4_lS5_li,comdat
.Lfunc_end8:
	.size	_ZL19rocblas_axpy_kernelIiLi256EDF16_PKDF16_S1_PDF16_EviT2_lT3_lT_lT4_lS5_li, .Lfunc_end8-_ZL19rocblas_axpy_kernelIiLi256EDF16_PKDF16_S1_PDF16_EviT2_lT3_lT_lT4_lS5_li
                                        ; -- End function
	.set _ZL19rocblas_axpy_kernelIiLi256EDF16_PKDF16_S1_PDF16_EviT2_lT3_lT_lT4_lS5_li.num_vgpr, 12
	.set _ZL19rocblas_axpy_kernelIiLi256EDF16_PKDF16_S1_PDF16_EviT2_lT3_lT_lT4_lS5_li.num_agpr, 0
	.set _ZL19rocblas_axpy_kernelIiLi256EDF16_PKDF16_S1_PDF16_EviT2_lT3_lT_lT4_lS5_li.numbered_sgpr, 26
	.set _ZL19rocblas_axpy_kernelIiLi256EDF16_PKDF16_S1_PDF16_EviT2_lT3_lT_lT4_lS5_li.num_named_barrier, 0
	.set _ZL19rocblas_axpy_kernelIiLi256EDF16_PKDF16_S1_PDF16_EviT2_lT3_lT_lT4_lS5_li.private_seg_size, 0
	.set _ZL19rocblas_axpy_kernelIiLi256EDF16_PKDF16_S1_PDF16_EviT2_lT3_lT_lT4_lS5_li.uses_vcc, 1
	.set _ZL19rocblas_axpy_kernelIiLi256EDF16_PKDF16_S1_PDF16_EviT2_lT3_lT_lT4_lS5_li.uses_flat_scratch, 0
	.set _ZL19rocblas_axpy_kernelIiLi256EDF16_PKDF16_S1_PDF16_EviT2_lT3_lT_lT4_lS5_li.has_dyn_sized_stack, 0
	.set _ZL19rocblas_axpy_kernelIiLi256EDF16_PKDF16_S1_PDF16_EviT2_lT3_lT_lT4_lS5_li.has_recursion, 0
	.set _ZL19rocblas_axpy_kernelIiLi256EDF16_PKDF16_S1_PDF16_EviT2_lT3_lT_lT4_lS5_li.has_indirect_call, 0
	.section	.AMDGPU.csdata,"",@progbits
; Kernel info:
; codeLenInByte = 412
; TotalNumSgprs: 28
; NumVgprs: 12
; ScratchSize: 0
; MemoryBound: 0
; FloatMode: 240
; IeeeMode: 1
; LDSByteSize: 0 bytes/workgroup (compile time only)
; SGPRBlocks: 0
; VGPRBlocks: 0
; NumSGPRsForWavesPerEU: 28
; NumVGPRsForWavesPerEU: 12
; NamedBarCnt: 0
; Occupancy: 16
; WaveLimiterHint : 0
; COMPUTE_PGM_RSRC2:SCRATCH_EN: 0
; COMPUTE_PGM_RSRC2:USER_SGPR: 2
; COMPUTE_PGM_RSRC2:TRAP_HANDLER: 0
; COMPUTE_PGM_RSRC2:TGID_X_EN: 1
; COMPUTE_PGM_RSRC2:TGID_Y_EN: 0
; COMPUTE_PGM_RSRC2:TGID_Z_EN: 1
; COMPUTE_PGM_RSRC2:TIDIG_COMP_CNT: 0
	.section	.text._ZL19rocblas_axpy_kernelIiLi256EDF16_DF16_PKDF16_PDF16_EviT2_lT3_lT_lT4_lS5_li,"axG",@progbits,_ZL19rocblas_axpy_kernelIiLi256EDF16_DF16_PKDF16_PDF16_EviT2_lT3_lT_lT4_lS5_li,comdat
	.globl	_ZL19rocblas_axpy_kernelIiLi256EDF16_DF16_PKDF16_PDF16_EviT2_lT3_lT_lT4_lS5_li ; -- Begin function _ZL19rocblas_axpy_kernelIiLi256EDF16_DF16_PKDF16_PDF16_EviT2_lT3_lT_lT4_lS5_li
	.p2align	8
	.type	_ZL19rocblas_axpy_kernelIiLi256EDF16_DF16_PKDF16_PDF16_EviT2_lT3_lT_lT4_lS5_li,@function
_ZL19rocblas_axpy_kernelIiLi256EDF16_DF16_PKDF16_PDF16_EviT2_lT3_lT_lT4_lS5_li: ; @_ZL19rocblas_axpy_kernelIiLi256EDF16_DF16_PKDF16_PDF16_EviT2_lT3_lT_lT4_lS5_li
; %bb.0:
	s_load_b32 s10, s[0:1], 0x50
	s_bfe_u32 s2, ttmp6, 0x40014
	s_lshr_b32 s3, ttmp7, 16
	s_add_co_i32 s2, s2, 1
	s_bfe_u32 s5, ttmp6, 0x40008
	s_mul_i32 s4, s3, s2
	s_getreg_b32 s2, hwreg(HW_REG_IB_STS2, 6, 4)
	s_add_co_i32 s5, s5, s4
	s_cmp_eq_u32 s2, 0
	s_cselect_b32 s4, s3, s5
	s_mov_b32 s5, 0
	s_wait_kmcnt 0x0
	s_cmp_ge_u32 s4, s10
	s_cbranch_scc1 .LBB9_5
; %bb.1:
	s_clause 0x2
	s_load_b32 s20, s[0:1], 0x20
	s_load_b96 s[16:18], s[0:1], 0x38
	s_load_b128 s[12:15], s[0:1], 0x10
	s_bfe_u32 s3, ttmp6, 0x4000c
	s_and_b32 s11, ttmp6, 15
	s_add_co_i32 s3, s3, 1
	v_mov_b32_e32 v1, 0
	s_mul_i32 s3, ttmp9, s3
	s_clause 0x1
	s_load_b64 s[6:7], s[0:1], 0x0
	s_load_b64 s[8:9], s[0:1], 0x48
	s_add_co_i32 s11, s11, s3
	s_wait_kmcnt 0x0
	s_ashr_i32 s21, s20, 31
	s_ashr_i32 s3, s18, 31
	s_lshl_b64 s[16:17], s[16:17], 1
	s_lshl_b64 s[14:15], s[14:15], 1
	s_cmp_eq_u32 s2, 0
	s_add_nc_u64 s[12:13], s[12:13], s[14:15]
	s_cselect_b32 s2, ttmp9, s11
	s_delay_alu instid0(SALU_CYCLE_1) | instskip(SKIP_3) | instid1(VALU_DEP_1)
	v_lshl_or_b32 v0, s2, 8, v0
	s_mov_b32 s2, s18
	s_cmp_neq_f16 s7, 0
	s_mov_b32 s18, s6
	v_mul_u64_e32 v[2:3], s[20:21], v[0:1]
	v_mul_u64_e32 v[4:5], s[2:3], v[0:1]
	s_load_b128 s[0:3], s[0:1], 0x28
	s_cselect_b32 s11, -1, 0
	s_ashr_i32 s19, s6, 31
	s_delay_alu instid0(SALU_CYCLE_1) | instskip(SKIP_2) | instid1(VALU_DEP_3)
	v_cmp_gt_i64_e32 vcc_lo, s[18:19], v[0:1]
	s_wait_kmcnt 0x0
	s_add_nc_u64 s[2:3], s[2:3], s[16:17]
	v_lshl_add_u64 v[0:1], v[2:3], 1, s[12:13]
	s_delay_alu instid0(VALU_DEP_3)
	v_lshl_add_u64 v[2:3], v[4:5], 1, s[2:3]
	s_and_b32 s2, s11, vcc_lo
	s_branch .LBB9_3
.LBB9_2:                                ;   in Loop: Header=BB9_3 Depth=1
	s_wait_xcnt 0x0
	s_or_b32 exec_lo, exec_lo, s3
	s_add_co_i32 s4, s4, 0x10000
	s_delay_alu instid0(SALU_CYCLE_1)
	s_cmp_lt_u32 s4, s10
	s_cbranch_scc0 .LBB9_5
.LBB9_3:                                ; =>This Inner Loop Header: Depth=1
	s_and_saveexec_b32 s3, s2
	s_cbranch_execz .LBB9_2
; %bb.4:                                ;   in Loop: Header=BB9_3 Depth=1
	s_mul_u64 s[12:13], s[8:9], s[4:5]
	s_mul_u64 s[14:15], s[0:1], s[4:5]
	v_lshl_add_u64 v[4:5], s[12:13], 1, v[2:3]
	v_lshl_add_u64 v[6:7], s[14:15], 1, v[0:1]
	global_load_u16 v8, v[4:5], off
	global_load_u16 v9, v[6:7], off
	s_wait_loadcnt 0x0
	v_fmac_f16_e32 v8, s7, v9
	global_store_b16 v[4:5], v8, off
	s_branch .LBB9_2
.LBB9_5:
	s_endpgm
	.section	.rodata,"a",@progbits
	.p2align	6, 0x0
	.amdhsa_kernel _ZL19rocblas_axpy_kernelIiLi256EDF16_DF16_PKDF16_PDF16_EviT2_lT3_lT_lT4_lS5_li
		.amdhsa_group_segment_fixed_size 0
		.amdhsa_private_segment_fixed_size 0
		.amdhsa_kernarg_size 84
		.amdhsa_user_sgpr_count 2
		.amdhsa_user_sgpr_dispatch_ptr 0
		.amdhsa_user_sgpr_queue_ptr 0
		.amdhsa_user_sgpr_kernarg_segment_ptr 1
		.amdhsa_user_sgpr_dispatch_id 0
		.amdhsa_user_sgpr_kernarg_preload_length 0
		.amdhsa_user_sgpr_kernarg_preload_offset 0
		.amdhsa_user_sgpr_private_segment_size 0
		.amdhsa_wavefront_size32 1
		.amdhsa_uses_dynamic_stack 0
		.amdhsa_enable_private_segment 0
		.amdhsa_system_sgpr_workgroup_id_x 1
		.amdhsa_system_sgpr_workgroup_id_y 0
		.amdhsa_system_sgpr_workgroup_id_z 1
		.amdhsa_system_sgpr_workgroup_info 0
		.amdhsa_system_vgpr_workitem_id 0
		.amdhsa_next_free_vgpr 10
		.amdhsa_next_free_sgpr 22
		.amdhsa_named_barrier_count 0
		.amdhsa_reserve_vcc 1
		.amdhsa_float_round_mode_32 0
		.amdhsa_float_round_mode_16_64 0
		.amdhsa_float_denorm_mode_32 3
		.amdhsa_float_denorm_mode_16_64 3
		.amdhsa_fp16_overflow 0
		.amdhsa_memory_ordered 1
		.amdhsa_forward_progress 1
		.amdhsa_inst_pref_size 3
		.amdhsa_round_robin_scheduling 0
		.amdhsa_exception_fp_ieee_invalid_op 0
		.amdhsa_exception_fp_denorm_src 0
		.amdhsa_exception_fp_ieee_div_zero 0
		.amdhsa_exception_fp_ieee_overflow 0
		.amdhsa_exception_fp_ieee_underflow 0
		.amdhsa_exception_fp_ieee_inexact 0
		.amdhsa_exception_int_div_zero 0
	.end_amdhsa_kernel
	.section	.text._ZL19rocblas_axpy_kernelIiLi256EDF16_DF16_PKDF16_PDF16_EviT2_lT3_lT_lT4_lS5_li,"axG",@progbits,_ZL19rocblas_axpy_kernelIiLi256EDF16_DF16_PKDF16_PDF16_EviT2_lT3_lT_lT4_lS5_li,comdat
.Lfunc_end9:
	.size	_ZL19rocblas_axpy_kernelIiLi256EDF16_DF16_PKDF16_PDF16_EviT2_lT3_lT_lT4_lS5_li, .Lfunc_end9-_ZL19rocblas_axpy_kernelIiLi256EDF16_DF16_PKDF16_PDF16_EviT2_lT3_lT_lT4_lS5_li
                                        ; -- End function
	.set _ZL19rocblas_axpy_kernelIiLi256EDF16_DF16_PKDF16_PDF16_EviT2_lT3_lT_lT4_lS5_li.num_vgpr, 10
	.set _ZL19rocblas_axpy_kernelIiLi256EDF16_DF16_PKDF16_PDF16_EviT2_lT3_lT_lT4_lS5_li.num_agpr, 0
	.set _ZL19rocblas_axpy_kernelIiLi256EDF16_DF16_PKDF16_PDF16_EviT2_lT3_lT_lT4_lS5_li.numbered_sgpr, 22
	.set _ZL19rocblas_axpy_kernelIiLi256EDF16_DF16_PKDF16_PDF16_EviT2_lT3_lT_lT4_lS5_li.num_named_barrier, 0
	.set _ZL19rocblas_axpy_kernelIiLi256EDF16_DF16_PKDF16_PDF16_EviT2_lT3_lT_lT4_lS5_li.private_seg_size, 0
	.set _ZL19rocblas_axpy_kernelIiLi256EDF16_DF16_PKDF16_PDF16_EviT2_lT3_lT_lT4_lS5_li.uses_vcc, 1
	.set _ZL19rocblas_axpy_kernelIiLi256EDF16_DF16_PKDF16_PDF16_EviT2_lT3_lT_lT4_lS5_li.uses_flat_scratch, 0
	.set _ZL19rocblas_axpy_kernelIiLi256EDF16_DF16_PKDF16_PDF16_EviT2_lT3_lT_lT4_lS5_li.has_dyn_sized_stack, 0
	.set _ZL19rocblas_axpy_kernelIiLi256EDF16_DF16_PKDF16_PDF16_EviT2_lT3_lT_lT4_lS5_li.has_recursion, 0
	.set _ZL19rocblas_axpy_kernelIiLi256EDF16_DF16_PKDF16_PDF16_EviT2_lT3_lT_lT4_lS5_li.has_indirect_call, 0
	.section	.AMDGPU.csdata,"",@progbits
; Kernel info:
; codeLenInByte = 380
; TotalNumSgprs: 24
; NumVgprs: 10
; ScratchSize: 0
; MemoryBound: 0
; FloatMode: 240
; IeeeMode: 1
; LDSByteSize: 0 bytes/workgroup (compile time only)
; SGPRBlocks: 0
; VGPRBlocks: 0
; NumSGPRsForWavesPerEU: 24
; NumVGPRsForWavesPerEU: 10
; NamedBarCnt: 0
; Occupancy: 16
; WaveLimiterHint : 0
; COMPUTE_PGM_RSRC2:SCRATCH_EN: 0
; COMPUTE_PGM_RSRC2:USER_SGPR: 2
; COMPUTE_PGM_RSRC2:TRAP_HANDLER: 0
; COMPUTE_PGM_RSRC2:TGID_X_EN: 1
; COMPUTE_PGM_RSRC2:TGID_Y_EN: 0
; COMPUTE_PGM_RSRC2:TGID_Z_EN: 1
; COMPUTE_PGM_RSRC2:TIDIG_COMP_CNT: 0
	.section	.text._ZL19rocblas_axpy_kernelIlLi256EDF16_PKDF16_S1_PDF16_EviT2_lT3_lT_lT4_lS5_li,"axG",@progbits,_ZL19rocblas_axpy_kernelIlLi256EDF16_PKDF16_S1_PDF16_EviT2_lT3_lT_lT4_lS5_li,comdat
	.globl	_ZL19rocblas_axpy_kernelIlLi256EDF16_PKDF16_S1_PDF16_EviT2_lT3_lT_lT4_lS5_li ; -- Begin function _ZL19rocblas_axpy_kernelIlLi256EDF16_PKDF16_S1_PDF16_EviT2_lT3_lT_lT4_lS5_li
	.p2align	8
	.type	_ZL19rocblas_axpy_kernelIlLi256EDF16_PKDF16_S1_PDF16_EviT2_lT3_lT_lT4_lS5_li,@function
_ZL19rocblas_axpy_kernelIlLi256EDF16_PKDF16_S1_PDF16_EviT2_lT3_lT_lT4_lS5_li: ; @_ZL19rocblas_axpy_kernelIlLi256EDF16_PKDF16_S1_PDF16_EviT2_lT3_lT_lT4_lS5_li
; %bb.0:
	s_load_b32 s16, s[0:1], 0x58
	s_bfe_u32 s2, ttmp6, 0x40014
	s_lshr_b32 s3, ttmp7, 16
	s_add_co_i32 s2, s2, 1
	s_bfe_u32 s4, ttmp6, 0x40008
	s_mul_i32 s2, s3, s2
	s_getreg_b32 s17, hwreg(HW_REG_IB_STS2, 6, 4)
	s_add_co_i32 s4, s4, s2
	s_cmp_eq_u32 s17, 0
	s_cselect_b32 s2, s3, s4
	s_mov_b32 s3, 0
	s_wait_kmcnt 0x0
	s_cmp_ge_u32 s2, s16
	s_cbranch_scc1 .LBB10_5
; %bb.1:
	s_clause 0x2
	s_load_b32 s18, s[0:1], 0x0
	s_load_b256 s[4:11], s[0:1], 0x30
	s_load_b128 s[20:23], s[0:1], 0x20
	s_bfe_u32 s12, ttmp6, 0x4000c
	s_and_b32 s19, ttmp6, 15
	s_add_co_i32 s12, s12, 1
	v_mov_b32_e32 v1, 0
	s_mul_i32 s24, ttmp9, s12
	s_load_b128 s[12:15], s[0:1], 0x8
	s_add_co_i32 s26, s19, s24
	s_wait_kmcnt 0x0
	s_ashr_i32 s19, s18, 31
	s_lshl_b64 s[24:25], s[8:9], 1
	s_lshl_b64 s[20:21], s[20:21], 1
	s_cmp_eq_u32 s17, 0
	s_cselect_b32 s8, ttmp9, s26
	s_delay_alu instid0(SALU_CYCLE_1) | instskip(NEXT) | instid1(VALU_DEP_1)
	v_lshl_or_b32 v0, s8, 8, v0
	v_mul_u64_e32 v[2:3], s[22:23], v[0:1]
	v_mul_u64_e32 v[4:5], s[10:11], v[0:1]
	s_clause 0x1
	s_load_b64 s[10:11], s[0:1], 0x18
	s_load_b64 s[8:9], s[0:1], 0x50
	s_wait_xcnt 0x0
	s_add_nc_u64 s[0:1], s[6:7], s[24:25]
	v_cmp_gt_i64_e32 vcc_lo, s[18:19], v[0:1]
	s_wait_kmcnt 0x0
	s_add_nc_u64 s[6:7], s[10:11], s[20:21]
	s_delay_alu instid0(VALU_DEP_3) | instid1(SALU_CYCLE_1)
	v_lshl_add_u64 v[2:3], v[2:3], 1, s[6:7]
	s_delay_alu instid0(VALU_DEP_3)
	v_lshl_add_u64 v[4:5], v[4:5], 1, s[0:1]
	s_branch .LBB10_3
.LBB10_2:                               ;   in Loop: Header=BB10_3 Depth=1
	s_wait_xcnt 0x0
	s_or_b32 exec_lo, exec_lo, s0
	s_add_co_i32 s2, s2, 0x10000
	s_delay_alu instid0(SALU_CYCLE_1)
	s_cmp_lt_u32 s2, s16
	s_cbranch_scc0 .LBB10_5
.LBB10_3:                               ; =>This Inner Loop Header: Depth=1
	s_mul_u64 s[0:1], s[14:15], s[2:3]
	s_delay_alu instid0(SALU_CYCLE_1) | instskip(NEXT) | instid1(SALU_CYCLE_1)
	s_lshl_b64 s[0:1], s[0:1], 1
	s_add_nc_u64 s[0:1], s[12:13], s[0:1]
	global_load_u16 v0, v1, s[0:1]
	s_wait_loadcnt 0x0
	s_wait_xcnt 0x0
	v_readfirstlane_b32 s0, v0
	s_cmp_neq_f16 s0, 0
	s_cselect_b32 s0, -1, 0
	s_delay_alu instid0(SALU_CYCLE_1) | instskip(NEXT) | instid1(SALU_CYCLE_1)
	s_and_b32 s1, vcc_lo, s0
	s_and_saveexec_b32 s0, s1
	s_cbranch_execz .LBB10_2
; %bb.4:                                ;   in Loop: Header=BB10_3 Depth=1
	s_mul_u64 s[6:7], s[8:9], s[2:3]
	s_mul_u64 s[10:11], s[4:5], s[2:3]
	v_lshl_add_u64 v[6:7], s[6:7], 1, v[4:5]
	v_lshl_add_u64 v[8:9], s[10:11], 1, v[2:3]
	global_load_u16 v10, v[6:7], off
	global_load_u16 v11, v[8:9], off
	s_wait_loadcnt 0x0
	v_fmac_f16_e32 v10, v0, v11
	global_store_b16 v[6:7], v10, off
	s_branch .LBB10_2
.LBB10_5:
	s_endpgm
	.section	.rodata,"a",@progbits
	.p2align	6, 0x0
	.amdhsa_kernel _ZL19rocblas_axpy_kernelIlLi256EDF16_PKDF16_S1_PDF16_EviT2_lT3_lT_lT4_lS5_li
		.amdhsa_group_segment_fixed_size 0
		.amdhsa_private_segment_fixed_size 0
		.amdhsa_kernarg_size 92
		.amdhsa_user_sgpr_count 2
		.amdhsa_user_sgpr_dispatch_ptr 0
		.amdhsa_user_sgpr_queue_ptr 0
		.amdhsa_user_sgpr_kernarg_segment_ptr 1
		.amdhsa_user_sgpr_dispatch_id 0
		.amdhsa_user_sgpr_kernarg_preload_length 0
		.amdhsa_user_sgpr_kernarg_preload_offset 0
		.amdhsa_user_sgpr_private_segment_size 0
		.amdhsa_wavefront_size32 1
		.amdhsa_uses_dynamic_stack 0
		.amdhsa_enable_private_segment 0
		.amdhsa_system_sgpr_workgroup_id_x 1
		.amdhsa_system_sgpr_workgroup_id_y 0
		.amdhsa_system_sgpr_workgroup_id_z 1
		.amdhsa_system_sgpr_workgroup_info 0
		.amdhsa_system_vgpr_workitem_id 0
		.amdhsa_next_free_vgpr 12
		.amdhsa_next_free_sgpr 27
		.amdhsa_named_barrier_count 0
		.amdhsa_reserve_vcc 1
		.amdhsa_float_round_mode_32 0
		.amdhsa_float_round_mode_16_64 0
		.amdhsa_float_denorm_mode_32 3
		.amdhsa_float_denorm_mode_16_64 3
		.amdhsa_fp16_overflow 0
		.amdhsa_memory_ordered 1
		.amdhsa_forward_progress 1
		.amdhsa_inst_pref_size 4
		.amdhsa_round_robin_scheduling 0
		.amdhsa_exception_fp_ieee_invalid_op 0
		.amdhsa_exception_fp_denorm_src 0
		.amdhsa_exception_fp_ieee_div_zero 0
		.amdhsa_exception_fp_ieee_overflow 0
		.amdhsa_exception_fp_ieee_underflow 0
		.amdhsa_exception_fp_ieee_inexact 0
		.amdhsa_exception_int_div_zero 0
	.end_amdhsa_kernel
	.section	.text._ZL19rocblas_axpy_kernelIlLi256EDF16_PKDF16_S1_PDF16_EviT2_lT3_lT_lT4_lS5_li,"axG",@progbits,_ZL19rocblas_axpy_kernelIlLi256EDF16_PKDF16_S1_PDF16_EviT2_lT3_lT_lT4_lS5_li,comdat
.Lfunc_end10:
	.size	_ZL19rocblas_axpy_kernelIlLi256EDF16_PKDF16_S1_PDF16_EviT2_lT3_lT_lT4_lS5_li, .Lfunc_end10-_ZL19rocblas_axpy_kernelIlLi256EDF16_PKDF16_S1_PDF16_EviT2_lT3_lT_lT4_lS5_li
                                        ; -- End function
	.set _ZL19rocblas_axpy_kernelIlLi256EDF16_PKDF16_S1_PDF16_EviT2_lT3_lT_lT4_lS5_li.num_vgpr, 12
	.set _ZL19rocblas_axpy_kernelIlLi256EDF16_PKDF16_S1_PDF16_EviT2_lT3_lT_lT4_lS5_li.num_agpr, 0
	.set _ZL19rocblas_axpy_kernelIlLi256EDF16_PKDF16_S1_PDF16_EviT2_lT3_lT_lT4_lS5_li.numbered_sgpr, 27
	.set _ZL19rocblas_axpy_kernelIlLi256EDF16_PKDF16_S1_PDF16_EviT2_lT3_lT_lT4_lS5_li.num_named_barrier, 0
	.set _ZL19rocblas_axpy_kernelIlLi256EDF16_PKDF16_S1_PDF16_EviT2_lT3_lT_lT4_lS5_li.private_seg_size, 0
	.set _ZL19rocblas_axpy_kernelIlLi256EDF16_PKDF16_S1_PDF16_EviT2_lT3_lT_lT4_lS5_li.uses_vcc, 1
	.set _ZL19rocblas_axpy_kernelIlLi256EDF16_PKDF16_S1_PDF16_EviT2_lT3_lT_lT4_lS5_li.uses_flat_scratch, 0
	.set _ZL19rocblas_axpy_kernelIlLi256EDF16_PKDF16_S1_PDF16_EviT2_lT3_lT_lT4_lS5_li.has_dyn_sized_stack, 0
	.set _ZL19rocblas_axpy_kernelIlLi256EDF16_PKDF16_S1_PDF16_EviT2_lT3_lT_lT4_lS5_li.has_recursion, 0
	.set _ZL19rocblas_axpy_kernelIlLi256EDF16_PKDF16_S1_PDF16_EviT2_lT3_lT_lT4_lS5_li.has_indirect_call, 0
	.section	.AMDGPU.csdata,"",@progbits
; Kernel info:
; codeLenInByte = 412
; TotalNumSgprs: 29
; NumVgprs: 12
; ScratchSize: 0
; MemoryBound: 0
; FloatMode: 240
; IeeeMode: 1
; LDSByteSize: 0 bytes/workgroup (compile time only)
; SGPRBlocks: 0
; VGPRBlocks: 0
; NumSGPRsForWavesPerEU: 29
; NumVGPRsForWavesPerEU: 12
; NamedBarCnt: 0
; Occupancy: 16
; WaveLimiterHint : 0
; COMPUTE_PGM_RSRC2:SCRATCH_EN: 0
; COMPUTE_PGM_RSRC2:USER_SGPR: 2
; COMPUTE_PGM_RSRC2:TRAP_HANDLER: 0
; COMPUTE_PGM_RSRC2:TGID_X_EN: 1
; COMPUTE_PGM_RSRC2:TGID_Y_EN: 0
; COMPUTE_PGM_RSRC2:TGID_Z_EN: 1
; COMPUTE_PGM_RSRC2:TIDIG_COMP_CNT: 0
	.section	.text._ZL19rocblas_axpy_kernelIlLi256EDF16_DF16_PKDF16_PDF16_EviT2_lT3_lT_lT4_lS5_li,"axG",@progbits,_ZL19rocblas_axpy_kernelIlLi256EDF16_DF16_PKDF16_PDF16_EviT2_lT3_lT_lT4_lS5_li,comdat
	.globl	_ZL19rocblas_axpy_kernelIlLi256EDF16_DF16_PKDF16_PDF16_EviT2_lT3_lT_lT4_lS5_li ; -- Begin function _ZL19rocblas_axpy_kernelIlLi256EDF16_DF16_PKDF16_PDF16_EviT2_lT3_lT_lT4_lS5_li
	.p2align	8
	.type	_ZL19rocblas_axpy_kernelIlLi256EDF16_DF16_PKDF16_PDF16_EviT2_lT3_lT_lT4_lS5_li,@function
_ZL19rocblas_axpy_kernelIlLi256EDF16_DF16_PKDF16_PDF16_EviT2_lT3_lT_lT4_lS5_li: ; @_ZL19rocblas_axpy_kernelIlLi256EDF16_DF16_PKDF16_PDF16_EviT2_lT3_lT_lT4_lS5_li
; %bb.0:
	s_load_b32 s12, s[0:1], 0x50
	s_bfe_u32 s2, ttmp6, 0x40014
	s_lshr_b32 s3, ttmp7, 16
	s_add_co_i32 s2, s2, 1
	s_bfe_u32 s4, ttmp6, 0x40008
	s_mul_i32 s2, s3, s2
	s_getreg_b32 s13, hwreg(HW_REG_IB_STS2, 6, 4)
	s_add_co_i32 s4, s4, s2
	s_cmp_eq_u32 s13, 0
	s_cselect_b32 s2, s3, s4
	s_mov_b32 s3, 0
	s_wait_kmcnt 0x0
	s_cmp_ge_u32 s2, s12
	s_cbranch_scc1 .LBB11_5
; %bb.1:
	s_clause 0x1
	s_load_b256 s[4:11], s[0:1], 0x28
	s_load_b128 s[16:19], s[0:1], 0x18
	s_bfe_u32 s14, ttmp6, 0x4000c
	s_and_b32 s15, ttmp6, 15
	s_add_co_i32 s14, s14, 1
	v_mov_b32_e32 v1, 0
	s_mul_i32 s14, ttmp9, s14
	s_delay_alu instid0(SALU_CYCLE_1)
	s_add_co_i32 s20, s15, s14
	s_wait_kmcnt 0x0
	s_lshl_b64 s[14:15], s[8:9], 1
	s_lshl_b64 s[16:17], s[16:17], 1
	s_cmp_eq_u32 s13, 0
	s_add_nc_u64 s[6:7], s[6:7], s[14:15]
	s_cselect_b32 s8, ttmp9, s20
	s_delay_alu instid0(SALU_CYCLE_1) | instskip(NEXT) | instid1(VALU_DEP_1)
	v_lshl_or_b32 v0, s8, 8, v0
	v_mul_u64_e32 v[2:3], s[18:19], v[0:1]
	v_mul_u64_e32 v[4:5], s[10:11], v[0:1]
	s_clause 0x2
	s_load_b64 s[8:9], s[0:1], 0x0
	s_load_b64 s[18:19], s[0:1], 0x10
	;; [unrolled: 1-line block ×3, first 2 shown]
	s_wait_kmcnt 0x0
	s_cmp_neq_f16 s9, 0
	s_mov_b32 s0, s8
	s_cselect_b32 s13, -1, 0
	s_ashr_i32 s1, s8, 31
	s_delay_alu instid0(SALU_CYCLE_1)
	v_cmp_gt_i64_e32 vcc_lo, s[0:1], v[0:1]
	s_add_nc_u64 s[0:1], s[18:19], s[16:17]
	s_delay_alu instid0(VALU_DEP_3) | instid1(SALU_CYCLE_1)
	v_lshl_add_u64 v[0:1], v[2:3], 1, s[0:1]
	s_delay_alu instid0(VALU_DEP_3)
	v_lshl_add_u64 v[2:3], v[4:5], 1, s[6:7]
	s_and_b32 s0, s13, vcc_lo
	s_branch .LBB11_3
.LBB11_2:                               ;   in Loop: Header=BB11_3 Depth=1
	s_wait_xcnt 0x0
	s_or_b32 exec_lo, exec_lo, s1
	s_add_co_i32 s2, s2, 0x10000
	s_delay_alu instid0(SALU_CYCLE_1)
	s_cmp_lt_u32 s2, s12
	s_cbranch_scc0 .LBB11_5
.LBB11_3:                               ; =>This Inner Loop Header: Depth=1
	s_and_saveexec_b32 s1, s0
	s_cbranch_execz .LBB11_2
; %bb.4:                                ;   in Loop: Header=BB11_3 Depth=1
	s_mul_u64 s[6:7], s[10:11], s[2:3]
	s_mul_u64 s[14:15], s[4:5], s[2:3]
	v_lshl_add_u64 v[4:5], s[6:7], 1, v[2:3]
	v_lshl_add_u64 v[6:7], s[14:15], 1, v[0:1]
	global_load_u16 v8, v[4:5], off
	global_load_u16 v9, v[6:7], off
	s_wait_loadcnt 0x0
	v_fmac_f16_e32 v8, s9, v9
	global_store_b16 v[4:5], v8, off
	s_branch .LBB11_2
.LBB11_5:
	s_endpgm
	.section	.rodata,"a",@progbits
	.p2align	6, 0x0
	.amdhsa_kernel _ZL19rocblas_axpy_kernelIlLi256EDF16_DF16_PKDF16_PDF16_EviT2_lT3_lT_lT4_lS5_li
		.amdhsa_group_segment_fixed_size 0
		.amdhsa_private_segment_fixed_size 0
		.amdhsa_kernarg_size 84
		.amdhsa_user_sgpr_count 2
		.amdhsa_user_sgpr_dispatch_ptr 0
		.amdhsa_user_sgpr_queue_ptr 0
		.amdhsa_user_sgpr_kernarg_segment_ptr 1
		.amdhsa_user_sgpr_dispatch_id 0
		.amdhsa_user_sgpr_kernarg_preload_length 0
		.amdhsa_user_sgpr_kernarg_preload_offset 0
		.amdhsa_user_sgpr_private_segment_size 0
		.amdhsa_wavefront_size32 1
		.amdhsa_uses_dynamic_stack 0
		.amdhsa_enable_private_segment 0
		.amdhsa_system_sgpr_workgroup_id_x 1
		.amdhsa_system_sgpr_workgroup_id_y 0
		.amdhsa_system_sgpr_workgroup_id_z 1
		.amdhsa_system_sgpr_workgroup_info 0
		.amdhsa_system_vgpr_workitem_id 0
		.amdhsa_next_free_vgpr 10
		.amdhsa_next_free_sgpr 21
		.amdhsa_named_barrier_count 0
		.amdhsa_reserve_vcc 1
		.amdhsa_float_round_mode_32 0
		.amdhsa_float_round_mode_16_64 0
		.amdhsa_float_denorm_mode_32 3
		.amdhsa_float_denorm_mode_16_64 3
		.amdhsa_fp16_overflow 0
		.amdhsa_memory_ordered 1
		.amdhsa_forward_progress 1
		.amdhsa_inst_pref_size 3
		.amdhsa_round_robin_scheduling 0
		.amdhsa_exception_fp_ieee_invalid_op 0
		.amdhsa_exception_fp_denorm_src 0
		.amdhsa_exception_fp_ieee_div_zero 0
		.amdhsa_exception_fp_ieee_overflow 0
		.amdhsa_exception_fp_ieee_underflow 0
		.amdhsa_exception_fp_ieee_inexact 0
		.amdhsa_exception_int_div_zero 0
	.end_amdhsa_kernel
	.section	.text._ZL19rocblas_axpy_kernelIlLi256EDF16_DF16_PKDF16_PDF16_EviT2_lT3_lT_lT4_lS5_li,"axG",@progbits,_ZL19rocblas_axpy_kernelIlLi256EDF16_DF16_PKDF16_PDF16_EviT2_lT3_lT_lT4_lS5_li,comdat
.Lfunc_end11:
	.size	_ZL19rocblas_axpy_kernelIlLi256EDF16_DF16_PKDF16_PDF16_EviT2_lT3_lT_lT4_lS5_li, .Lfunc_end11-_ZL19rocblas_axpy_kernelIlLi256EDF16_DF16_PKDF16_PDF16_EviT2_lT3_lT_lT4_lS5_li
                                        ; -- End function
	.set _ZL19rocblas_axpy_kernelIlLi256EDF16_DF16_PKDF16_PDF16_EviT2_lT3_lT_lT4_lS5_li.num_vgpr, 10
	.set _ZL19rocblas_axpy_kernelIlLi256EDF16_DF16_PKDF16_PDF16_EviT2_lT3_lT_lT4_lS5_li.num_agpr, 0
	.set _ZL19rocblas_axpy_kernelIlLi256EDF16_DF16_PKDF16_PDF16_EviT2_lT3_lT_lT4_lS5_li.numbered_sgpr, 21
	.set _ZL19rocblas_axpy_kernelIlLi256EDF16_DF16_PKDF16_PDF16_EviT2_lT3_lT_lT4_lS5_li.num_named_barrier, 0
	.set _ZL19rocblas_axpy_kernelIlLi256EDF16_DF16_PKDF16_PDF16_EviT2_lT3_lT_lT4_lS5_li.private_seg_size, 0
	.set _ZL19rocblas_axpy_kernelIlLi256EDF16_DF16_PKDF16_PDF16_EviT2_lT3_lT_lT4_lS5_li.uses_vcc, 1
	.set _ZL19rocblas_axpy_kernelIlLi256EDF16_DF16_PKDF16_PDF16_EviT2_lT3_lT_lT4_lS5_li.uses_flat_scratch, 0
	.set _ZL19rocblas_axpy_kernelIlLi256EDF16_DF16_PKDF16_PDF16_EviT2_lT3_lT_lT4_lS5_li.has_dyn_sized_stack, 0
	.set _ZL19rocblas_axpy_kernelIlLi256EDF16_DF16_PKDF16_PDF16_EviT2_lT3_lT_lT4_lS5_li.has_recursion, 0
	.set _ZL19rocblas_axpy_kernelIlLi256EDF16_DF16_PKDF16_PDF16_EviT2_lT3_lT_lT4_lS5_li.has_indirect_call, 0
	.section	.AMDGPU.csdata,"",@progbits
; Kernel info:
; codeLenInByte = 368
; TotalNumSgprs: 23
; NumVgprs: 10
; ScratchSize: 0
; MemoryBound: 0
; FloatMode: 240
; IeeeMode: 1
; LDSByteSize: 0 bytes/workgroup (compile time only)
; SGPRBlocks: 0
; VGPRBlocks: 0
; NumSGPRsForWavesPerEU: 23
; NumVGPRsForWavesPerEU: 10
; NamedBarCnt: 0
; Occupancy: 16
; WaveLimiterHint : 0
; COMPUTE_PGM_RSRC2:SCRATCH_EN: 0
; COMPUTE_PGM_RSRC2:USER_SGPR: 2
; COMPUTE_PGM_RSRC2:TRAP_HANDLER: 0
; COMPUTE_PGM_RSRC2:TGID_X_EN: 1
; COMPUTE_PGM_RSRC2:TGID_Y_EN: 0
; COMPUTE_PGM_RSRC2:TGID_Z_EN: 1
; COMPUTE_PGM_RSRC2:TIDIG_COMP_CNT: 0
	.section	.text._ZL26rocblas_haxpy_mlt_8_kernelILi256EPKDF16_PKfPfEviT0_lT1_llT2_lli,"axG",@progbits,_ZL26rocblas_haxpy_mlt_8_kernelILi256EPKDF16_PKfPfEviT0_lT1_llT2_lli,comdat
	.globl	_ZL26rocblas_haxpy_mlt_8_kernelILi256EPKDF16_PKfPfEviT0_lT1_llT2_lli ; -- Begin function _ZL26rocblas_haxpy_mlt_8_kernelILi256EPKDF16_PKfPfEviT0_lT1_llT2_lli
	.p2align	8
	.type	_ZL26rocblas_haxpy_mlt_8_kernelILi256EPKDF16_PKfPfEviT0_lT1_llT2_lli,@function
_ZL26rocblas_haxpy_mlt_8_kernelILi256EPKDF16_PKfPfEviT0_lT1_llT2_lli: ; @_ZL26rocblas_haxpy_mlt_8_kernelILi256EPKDF16_PKfPfEviT0_lT1_llT2_lli
; %bb.0:
	s_load_b32 s20, s[0:1], 0x48
	s_bfe_u32 s2, ttmp6, 0x40014
	s_lshr_b32 s3, ttmp7, 16
	s_add_co_i32 s2, s2, 1
	s_bfe_u32 s4, ttmp6, 0x40008
	s_mul_i32 s2, s3, s2
	s_getreg_b32 s21, hwreg(HW_REG_IB_STS2, 6, 4)
	s_add_co_i32 s4, s4, s2
	s_cmp_eq_u32 s21, 0
	s_cselect_b32 s2, s3, s4
	s_mov_b32 s3, 0
	s_wait_kmcnt 0x0
	s_cmp_ge_u32 s2, s20
	s_cbranch_scc1 .LBB12_5
; %bb.1:
	s_clause 0x1
	s_load_b32 s22, s[0:1], 0x0
	s_load_b512 s[4:19], s[0:1], 0x8
	s_wait_xcnt 0x0
	s_bfe_u32 s0, ttmp6, 0x4000c
	s_and_b32 s1, ttmp6, 15
	s_add_co_i32 s0, s0, 1
	v_mov_b32_e32 v1, 0
	s_mul_i32 s0, ttmp9, s0
	s_delay_alu instid0(SALU_CYCLE_1)
	s_add_co_i32 s24, s1, s0
	s_wait_kmcnt 0x0
	s_ashr_i32 s23, s22, 31
	s_lshl_b64 s[0:1], s[16:17], 2
	s_lshl_b64 s[10:11], s[10:11], 2
	s_cmp_eq_u32 s21, 0
	s_add_nc_u64 s[0:1], s[14:15], s[0:1]
	s_cselect_b32 s16, ttmp9, s24
	s_add_nc_u64 s[8:9], s[8:9], s[10:11]
	v_lshl_or_b32 v0, s16, 8, v0
	s_delay_alu instid0(VALU_DEP_1) | instskip(SKIP_1) | instid1(VALU_DEP_2)
	v_lshlrev_b64_e32 v[2:3], 3, v[0:1]
	v_lshlrev_b64_e32 v[4:5], 5, v[0:1]
	v_cmp_le_i64_e32 vcc_lo, s[22:23], v[2:3]
	s_delay_alu instid0(VALU_DEP_2)
	v_add_nc_u64_e32 v[2:3], s[8:9], v[4:5]
	v_add_nc_u64_e32 v[4:5], s[0:1], v[4:5]
	s_xor_b32 s0, vcc_lo, -1
	s_branch .LBB12_3
.LBB12_2:                               ;   in Loop: Header=BB12_3 Depth=1
	s_wait_xcnt 0x0
	s_or_b32 exec_lo, exec_lo, s1
	s_add_co_i32 s2, s2, 0x10000
	s_delay_alu instid0(SALU_CYCLE_1)
	s_cmp_lt_u32 s2, s20
	s_cbranch_scc0 .LBB12_5
.LBB12_3:                               ; =>This Inner Loop Header: Depth=1
	s_mul_u64 s[8:9], s[6:7], s[2:3]
	s_delay_alu instid0(SALU_CYCLE_1) | instskip(NEXT) | instid1(SALU_CYCLE_1)
	s_lshl_b64 s[8:9], s[8:9], 1
	s_add_nc_u64 s[8:9], s[4:5], s[8:9]
	global_load_u16 v0, v1, s[8:9]
	s_wait_loadcnt 0x0
	v_readfirstlane_b32 s1, v0
	s_pack_ll_b32_b16 s1, s1, s1
	s_delay_alu instid0(SALU_CYCLE_1) | instskip(NEXT) | instid1(SALU_CYCLE_1)
	s_and_b32 s1, s1, 0x7fff
	s_cmp_lg_u32 s1, 0
	s_cselect_b32 s1, -1, 0
	s_wait_xcnt 0x0
	s_and_b32 s8, s1, s0
	s_delay_alu instid0(SALU_CYCLE_1)
	s_and_saveexec_b32 s1, s8
	s_cbranch_execz .LBB12_2
; %bb.4:                                ;   in Loop: Header=BB12_3 Depth=1
	s_mul_u64 s[8:9], s[18:19], s[2:3]
	s_mul_u64 s[10:11], s[12:13], s[2:3]
	v_lshl_add_u64 v[14:15], s[8:9], 2, v[4:5]
	v_lshl_add_u64 v[16:17], s[10:11], 2, v[2:3]
	global_load_b128 v[6:9], v[14:15], off
	global_load_b128 v[10:13], v[16:17], off
	s_wait_loadcnt 0x0
	v_pk_fma_f16 v9, v0, v13, v9 op_sel_hi:[0,1,1]
	v_pk_fma_f16 v8, v0, v12, v8 op_sel_hi:[0,1,1]
	;; [unrolled: 1-line block ×4, first 2 shown]
	global_store_b128 v[14:15], v[6:9], off
	s_branch .LBB12_2
.LBB12_5:
	s_endpgm
	.section	.rodata,"a",@progbits
	.p2align	6, 0x0
	.amdhsa_kernel _ZL26rocblas_haxpy_mlt_8_kernelILi256EPKDF16_PKfPfEviT0_lT1_llT2_lli
		.amdhsa_group_segment_fixed_size 0
		.amdhsa_private_segment_fixed_size 0
		.amdhsa_kernarg_size 76
		.amdhsa_user_sgpr_count 2
		.amdhsa_user_sgpr_dispatch_ptr 0
		.amdhsa_user_sgpr_queue_ptr 0
		.amdhsa_user_sgpr_kernarg_segment_ptr 1
		.amdhsa_user_sgpr_dispatch_id 0
		.amdhsa_user_sgpr_kernarg_preload_length 0
		.amdhsa_user_sgpr_kernarg_preload_offset 0
		.amdhsa_user_sgpr_private_segment_size 0
		.amdhsa_wavefront_size32 1
		.amdhsa_uses_dynamic_stack 0
		.amdhsa_enable_private_segment 0
		.amdhsa_system_sgpr_workgroup_id_x 1
		.amdhsa_system_sgpr_workgroup_id_y 0
		.amdhsa_system_sgpr_workgroup_id_z 1
		.amdhsa_system_sgpr_workgroup_info 0
		.amdhsa_system_vgpr_workitem_id 0
		.amdhsa_next_free_vgpr 18
		.amdhsa_next_free_sgpr 25
		.amdhsa_named_barrier_count 0
		.amdhsa_reserve_vcc 1
		.amdhsa_float_round_mode_32 0
		.amdhsa_float_round_mode_16_64 0
		.amdhsa_float_denorm_mode_32 3
		.amdhsa_float_denorm_mode_16_64 3
		.amdhsa_fp16_overflow 0
		.amdhsa_memory_ordered 1
		.amdhsa_forward_progress 1
		.amdhsa_inst_pref_size 4
		.amdhsa_round_robin_scheduling 0
		.amdhsa_exception_fp_ieee_invalid_op 0
		.amdhsa_exception_fp_denorm_src 0
		.amdhsa_exception_fp_ieee_div_zero 0
		.amdhsa_exception_fp_ieee_overflow 0
		.amdhsa_exception_fp_ieee_underflow 0
		.amdhsa_exception_fp_ieee_inexact 0
		.amdhsa_exception_int_div_zero 0
	.end_amdhsa_kernel
	.section	.text._ZL26rocblas_haxpy_mlt_8_kernelILi256EPKDF16_PKfPfEviT0_lT1_llT2_lli,"axG",@progbits,_ZL26rocblas_haxpy_mlt_8_kernelILi256EPKDF16_PKfPfEviT0_lT1_llT2_lli,comdat
.Lfunc_end12:
	.size	_ZL26rocblas_haxpy_mlt_8_kernelILi256EPKDF16_PKfPfEviT0_lT1_llT2_lli, .Lfunc_end12-_ZL26rocblas_haxpy_mlt_8_kernelILi256EPKDF16_PKfPfEviT0_lT1_llT2_lli
                                        ; -- End function
	.set _ZL26rocblas_haxpy_mlt_8_kernelILi256EPKDF16_PKfPfEviT0_lT1_llT2_lli.num_vgpr, 18
	.set _ZL26rocblas_haxpy_mlt_8_kernelILi256EPKDF16_PKfPfEviT0_lT1_llT2_lli.num_agpr, 0
	.set _ZL26rocblas_haxpy_mlt_8_kernelILi256EPKDF16_PKfPfEviT0_lT1_llT2_lli.numbered_sgpr, 25
	.set _ZL26rocblas_haxpy_mlt_8_kernelILi256EPKDF16_PKfPfEviT0_lT1_llT2_lli.num_named_barrier, 0
	.set _ZL26rocblas_haxpy_mlt_8_kernelILi256EPKDF16_PKfPfEviT0_lT1_llT2_lli.private_seg_size, 0
	.set _ZL26rocblas_haxpy_mlt_8_kernelILi256EPKDF16_PKfPfEviT0_lT1_llT2_lli.uses_vcc, 1
	.set _ZL26rocblas_haxpy_mlt_8_kernelILi256EPKDF16_PKfPfEviT0_lT1_llT2_lli.uses_flat_scratch, 0
	.set _ZL26rocblas_haxpy_mlt_8_kernelILi256EPKDF16_PKfPfEviT0_lT1_llT2_lli.has_dyn_sized_stack, 0
	.set _ZL26rocblas_haxpy_mlt_8_kernelILi256EPKDF16_PKfPfEviT0_lT1_llT2_lli.has_recursion, 0
	.set _ZL26rocblas_haxpy_mlt_8_kernelILi256EPKDF16_PKfPfEviT0_lT1_llT2_lli.has_indirect_call, 0
	.section	.AMDGPU.csdata,"",@progbits
; Kernel info:
; codeLenInByte = 412
; TotalNumSgprs: 27
; NumVgprs: 18
; ScratchSize: 0
; MemoryBound: 1
; FloatMode: 240
; IeeeMode: 1
; LDSByteSize: 0 bytes/workgroup (compile time only)
; SGPRBlocks: 0
; VGPRBlocks: 1
; NumSGPRsForWavesPerEU: 27
; NumVGPRsForWavesPerEU: 18
; NamedBarCnt: 0
; Occupancy: 16
; WaveLimiterHint : 0
; COMPUTE_PGM_RSRC2:SCRATCH_EN: 0
; COMPUTE_PGM_RSRC2:USER_SGPR: 2
; COMPUTE_PGM_RSRC2:TRAP_HANDLER: 0
; COMPUTE_PGM_RSRC2:TGID_X_EN: 1
; COMPUTE_PGM_RSRC2:TGID_Y_EN: 0
; COMPUTE_PGM_RSRC2:TGID_Z_EN: 1
; COMPUTE_PGM_RSRC2:TIDIG_COMP_CNT: 0
	.section	.text._ZL26rocblas_haxpy_mod_8_kernelILi256EPKfS1_PfEviT0_lT1_llT2_lli,"axG",@progbits,_ZL26rocblas_haxpy_mod_8_kernelILi256EPKfS1_PfEviT0_lT1_llT2_lli,comdat
	.globl	_ZL26rocblas_haxpy_mod_8_kernelILi256EPKfS1_PfEviT0_lT1_llT2_lli ; -- Begin function _ZL26rocblas_haxpy_mod_8_kernelILi256EPKfS1_PfEviT0_lT1_llT2_lli
	.p2align	8
	.type	_ZL26rocblas_haxpy_mod_8_kernelILi256EPKfS1_PfEviT0_lT1_llT2_lli,@function
_ZL26rocblas_haxpy_mod_8_kernelILi256EPKfS1_PfEviT0_lT1_llT2_lli: ; @_ZL26rocblas_haxpy_mod_8_kernelILi256EPKfS1_PfEviT0_lT1_llT2_lli
; %bb.0:
	s_load_b32 s20, s[0:1], 0x48
	s_bfe_u32 s2, ttmp6, 0x40014
	s_lshr_b32 s3, ttmp7, 16
	s_add_co_i32 s2, s2, 1
	s_bfe_u32 s4, ttmp6, 0x40008
	s_mul_i32 s2, s3, s2
	s_getreg_b32 s21, hwreg(HW_REG_IB_STS2, 6, 4)
	s_add_co_i32 s4, s4, s2
	s_cmp_eq_u32 s21, 0
	s_cselect_b32 s2, s3, s4
	s_mov_b32 s3, 0
	s_wait_kmcnt 0x0
	s_cmp_ge_u32 s2, s20
	s_cbranch_scc1 .LBB13_5
; %bb.1:
	s_clause 0x1
	s_load_b32 s22, s[0:1], 0x0
	s_load_b512 s[4:19], s[0:1], 0x8
	s_wait_xcnt 0x0
	s_bfe_u32 s0, ttmp6, 0x4000c
	s_and_b32 s1, ttmp6, 15
	s_add_co_i32 s0, s0, 1
	v_mov_b32_e32 v1, 0
	s_mul_i32 s0, ttmp9, s0
	s_delay_alu instid0(SALU_CYCLE_1) | instskip(SKIP_4) | instid1(SALU_CYCLE_1)
	s_add_co_i32 s1, s1, s0
	s_wait_kmcnt 0x0
	s_ashr_i32 s23, s22, 31
	s_cmp_eq_u32 s21, 0
	s_cselect_b32 s0, ttmp9, s1
	v_lshl_or_b32 v0, s0, 8, v0
	s_lshl_b64 s[0:1], s[10:11], 2
	s_lshl_b64 s[10:11], s[16:17], 2
	s_add_nc_u64 s[0:1], s[8:9], s[0:1]
	s_add_nc_u64 s[8:9], s[14:15], s[10:11]
	v_lshlrev_b64_e32 v[4:5], 2, v[0:1]
	v_cmp_gt_i64_e32 vcc_lo, s[22:23], v[0:1]
	s_delay_alu instid0(VALU_DEP_2)
	v_add_nc_u64_e32 v[2:3], s[0:1], v[4:5]
	v_add_nc_u64_e32 v[4:5], s[8:9], v[4:5]
	s_branch .LBB13_3
.LBB13_2:                               ;   in Loop: Header=BB13_3 Depth=1
	s_wait_xcnt 0x0
	s_or_b32 exec_lo, exec_lo, s0
	s_add_co_i32 s2, s2, 0x10000
	s_delay_alu instid0(SALU_CYCLE_1)
	s_cmp_lt_u32 s2, s20
	s_cbranch_scc0 .LBB13_5
.LBB13_3:                               ; =>This Inner Loop Header: Depth=1
	s_mul_u64 s[0:1], s[6:7], s[2:3]
	s_delay_alu instid0(SALU_CYCLE_1) | instskip(NEXT) | instid1(SALU_CYCLE_1)
	s_lshl_b64 s[0:1], s[0:1], 2
	s_add_nc_u64 s[0:1], s[4:5], s[0:1]
	global_load_b32 v0, v1, s[0:1]
	s_wait_loadcnt 0x0
	s_wait_xcnt 0x0
	v_readfirstlane_b32 s0, v0
	s_cmp_neq_f32 s0, 0
	s_cselect_b32 s0, -1, 0
	s_delay_alu instid0(SALU_CYCLE_1) | instskip(NEXT) | instid1(SALU_CYCLE_1)
	s_and_b32 s1, vcc_lo, s0
	s_and_saveexec_b32 s0, s1
	s_cbranch_execz .LBB13_2
; %bb.4:                                ;   in Loop: Header=BB13_3 Depth=1
	s_mul_u64 s[8:9], s[12:13], s[2:3]
	s_mul_u64 s[10:11], s[18:19], s[2:3]
	v_lshl_add_u64 v[6:7], s[8:9], 2, v[2:3]
	v_lshl_add_u64 v[8:9], s[10:11], 2, v[4:5]
	global_load_b32 v10, v[6:7], off
	global_load_b32 v11, v[8:9], off
	s_wait_loadcnt 0x0
	v_fmac_f32_e32 v11, v0, v10
	global_store_b32 v[8:9], v11, off
	s_branch .LBB13_2
.LBB13_5:
	s_endpgm
	.section	.rodata,"a",@progbits
	.p2align	6, 0x0
	.amdhsa_kernel _ZL26rocblas_haxpy_mod_8_kernelILi256EPKfS1_PfEviT0_lT1_llT2_lli
		.amdhsa_group_segment_fixed_size 0
		.amdhsa_private_segment_fixed_size 0
		.amdhsa_kernarg_size 76
		.amdhsa_user_sgpr_count 2
		.amdhsa_user_sgpr_dispatch_ptr 0
		.amdhsa_user_sgpr_queue_ptr 0
		.amdhsa_user_sgpr_kernarg_segment_ptr 1
		.amdhsa_user_sgpr_dispatch_id 0
		.amdhsa_user_sgpr_kernarg_preload_length 0
		.amdhsa_user_sgpr_kernarg_preload_offset 0
		.amdhsa_user_sgpr_private_segment_size 0
		.amdhsa_wavefront_size32 1
		.amdhsa_uses_dynamic_stack 0
		.amdhsa_enable_private_segment 0
		.amdhsa_system_sgpr_workgroup_id_x 1
		.amdhsa_system_sgpr_workgroup_id_y 0
		.amdhsa_system_sgpr_workgroup_id_z 1
		.amdhsa_system_sgpr_workgroup_info 0
		.amdhsa_system_vgpr_workitem_id 0
		.amdhsa_next_free_vgpr 12
		.amdhsa_next_free_sgpr 24
		.amdhsa_named_barrier_count 0
		.amdhsa_reserve_vcc 1
		.amdhsa_float_round_mode_32 0
		.amdhsa_float_round_mode_16_64 0
		.amdhsa_float_denorm_mode_32 3
		.amdhsa_float_denorm_mode_16_64 3
		.amdhsa_fp16_overflow 0
		.amdhsa_memory_ordered 1
		.amdhsa_forward_progress 1
		.amdhsa_inst_pref_size 3
		.amdhsa_round_robin_scheduling 0
		.amdhsa_exception_fp_ieee_invalid_op 0
		.amdhsa_exception_fp_denorm_src 0
		.amdhsa_exception_fp_ieee_div_zero 0
		.amdhsa_exception_fp_ieee_overflow 0
		.amdhsa_exception_fp_ieee_underflow 0
		.amdhsa_exception_fp_ieee_inexact 0
		.amdhsa_exception_int_div_zero 0
	.end_amdhsa_kernel
	.section	.text._ZL26rocblas_haxpy_mod_8_kernelILi256EPKfS1_PfEviT0_lT1_llT2_lli,"axG",@progbits,_ZL26rocblas_haxpy_mod_8_kernelILi256EPKfS1_PfEviT0_lT1_llT2_lli,comdat
.Lfunc_end13:
	.size	_ZL26rocblas_haxpy_mod_8_kernelILi256EPKfS1_PfEviT0_lT1_llT2_lli, .Lfunc_end13-_ZL26rocblas_haxpy_mod_8_kernelILi256EPKfS1_PfEviT0_lT1_llT2_lli
                                        ; -- End function
	.set _ZL26rocblas_haxpy_mod_8_kernelILi256EPKfS1_PfEviT0_lT1_llT2_lli.num_vgpr, 12
	.set _ZL26rocblas_haxpy_mod_8_kernelILi256EPKfS1_PfEviT0_lT1_llT2_lli.num_agpr, 0
	.set _ZL26rocblas_haxpy_mod_8_kernelILi256EPKfS1_PfEviT0_lT1_llT2_lli.numbered_sgpr, 24
	.set _ZL26rocblas_haxpy_mod_8_kernelILi256EPKfS1_PfEviT0_lT1_llT2_lli.num_named_barrier, 0
	.set _ZL26rocblas_haxpy_mod_8_kernelILi256EPKfS1_PfEviT0_lT1_llT2_lli.private_seg_size, 0
	.set _ZL26rocblas_haxpy_mod_8_kernelILi256EPKfS1_PfEviT0_lT1_llT2_lli.uses_vcc, 1
	.set _ZL26rocblas_haxpy_mod_8_kernelILi256EPKfS1_PfEviT0_lT1_llT2_lli.uses_flat_scratch, 0
	.set _ZL26rocblas_haxpy_mod_8_kernelILi256EPKfS1_PfEviT0_lT1_llT2_lli.has_dyn_sized_stack, 0
	.set _ZL26rocblas_haxpy_mod_8_kernelILi256EPKfS1_PfEviT0_lT1_llT2_lli.has_recursion, 0
	.set _ZL26rocblas_haxpy_mod_8_kernelILi256EPKfS1_PfEviT0_lT1_llT2_lli.has_indirect_call, 0
	.section	.AMDGPU.csdata,"",@progbits
; Kernel info:
; codeLenInByte = 356
; TotalNumSgprs: 26
; NumVgprs: 12
; ScratchSize: 0
; MemoryBound: 0
; FloatMode: 240
; IeeeMode: 1
; LDSByteSize: 0 bytes/workgroup (compile time only)
; SGPRBlocks: 0
; VGPRBlocks: 0
; NumSGPRsForWavesPerEU: 26
; NumVGPRsForWavesPerEU: 12
; NamedBarCnt: 0
; Occupancy: 16
; WaveLimiterHint : 0
; COMPUTE_PGM_RSRC2:SCRATCH_EN: 0
; COMPUTE_PGM_RSRC2:USER_SGPR: 2
; COMPUTE_PGM_RSRC2:TRAP_HANDLER: 0
; COMPUTE_PGM_RSRC2:TGID_X_EN: 1
; COMPUTE_PGM_RSRC2:TGID_Y_EN: 0
; COMPUTE_PGM_RSRC2:TGID_Z_EN: 1
; COMPUTE_PGM_RSRC2:TIDIG_COMP_CNT: 0
	.section	.text._ZL26rocblas_haxpy_mlt_8_kernelILi256EDF16_PKfPfEviT0_lT1_llT2_lli,"axG",@progbits,_ZL26rocblas_haxpy_mlt_8_kernelILi256EDF16_PKfPfEviT0_lT1_llT2_lli,comdat
	.globl	_ZL26rocblas_haxpy_mlt_8_kernelILi256EDF16_PKfPfEviT0_lT1_llT2_lli ; -- Begin function _ZL26rocblas_haxpy_mlt_8_kernelILi256EDF16_PKfPfEviT0_lT1_llT2_lli
	.p2align	8
	.type	_ZL26rocblas_haxpy_mlt_8_kernelILi256EDF16_PKfPfEviT0_lT1_llT2_lli,@function
_ZL26rocblas_haxpy_mlt_8_kernelILi256EDF16_PKfPfEviT0_lT1_llT2_lli: ; @_ZL26rocblas_haxpy_mlt_8_kernelILi256EDF16_PKfPfEviT0_lT1_llT2_lli
; %bb.0:
	s_load_b32 s16, s[0:1], 0x40
	s_bfe_u32 s2, ttmp6, 0x40014
	s_lshr_b32 s3, ttmp7, 16
	s_add_co_i32 s2, s2, 1
	s_bfe_u32 s4, ttmp6, 0x40008
	s_mul_i32 s2, s3, s2
	s_getreg_b32 s17, hwreg(HW_REG_IB_STS2, 6, 4)
	s_add_co_i32 s4, s4, s2
	s_cmp_eq_u32 s17, 0
	s_cselect_b32 s2, s3, s4
	s_mov_b32 s3, 0
	s_wait_kmcnt 0x0
	s_cmp_ge_u32 s2, s16
	s_cbranch_scc1 .LBB14_5
; %bb.1:
	s_clause 0x2
	s_load_b128 s[12:15], s[0:1], 0x30
	s_load_b256 s[4:11], s[0:1], 0x10
	s_load_b64 s[18:19], s[0:1], 0x0
	s_wait_xcnt 0x0
	s_bfe_u32 s0, ttmp6, 0x4000c
	s_and_b32 s1, ttmp6, 15
	s_add_co_i32 s0, s0, 1
	v_mov_b32_e32 v1, 0
	s_mul_i32 s0, ttmp9, s0
	s_delay_alu instid0(SALU_CYCLE_1)
	s_add_co_i32 s1, s1, s0
	s_wait_kmcnt 0x0
	s_lshl_b64 s[12:13], s[12:13], 2
	s_lshl_b64 s[6:7], s[6:7], 2
	s_cmp_eq_u32 s17, 0
	s_add_nc_u64 s[4:5], s[4:5], s[6:7]
	s_cselect_b32 s0, ttmp9, s1
	s_add_nc_u64 s[6:7], s[10:11], s[12:13]
	v_lshl_or_b32 v0, s0, 8, v0
	s_pack_ll_b32_b16 s0, s19, s19
	s_delay_alu instid0(SALU_CYCLE_1) | instskip(NEXT) | instid1(SALU_CYCLE_1)
	s_and_b32 s1, s0, 0x7fff
	s_cmp_lg_u32 s1, 0
	s_delay_alu instid0(VALU_DEP_1) | instskip(SKIP_4) | instid1(VALU_DEP_2)
	v_lshlrev_b64_e32 v[2:3], 3, v[0:1]
	v_lshlrev_b64_e32 v[4:5], 5, v[0:1]
	s_cselect_b32 s17, -1, 0
	s_ashr_i32 s19, s18, 31
	s_mov_b32 s1, s0
	v_cmp_gt_i64_e32 vcc_lo, s[18:19], v[2:3]
	s_delay_alu instid0(VALU_DEP_2)
	v_add_nc_u64_e32 v[0:1], s[4:5], v[4:5]
	v_add_nc_u64_e32 v[2:3], s[6:7], v[4:5]
	s_mov_b32 s4, s0
	s_mov_b32 s6, s0
	s_and_b32 s5, s17, vcc_lo
	s_branch .LBB14_3
.LBB14_2:                               ;   in Loop: Header=BB14_3 Depth=1
	s_wait_xcnt 0x0
	s_or_b32 exec_lo, exec_lo, s7
	s_add_co_i32 s2, s2, 0x10000
	s_delay_alu instid0(SALU_CYCLE_1)
	s_cmp_lt_u32 s2, s16
	s_cbranch_scc0 .LBB14_5
.LBB14_3:                               ; =>This Inner Loop Header: Depth=1
	s_and_saveexec_b32 s7, s5
	s_cbranch_execz .LBB14_2
; %bb.4:                                ;   in Loop: Header=BB14_3 Depth=1
	s_mul_u64 s[10:11], s[14:15], s[2:3]
	s_mul_u64 s[12:13], s[8:9], s[2:3]
	v_lshl_add_u64 v[12:13], s[10:11], 2, v[2:3]
	v_lshl_add_u64 v[14:15], s[12:13], 2, v[0:1]
	global_load_b128 v[4:7], v[12:13], off
	global_load_b128 v[8:11], v[14:15], off
	s_wait_loadcnt 0x0
	v_pk_fma_f16 v7, s6, v11, v7
	v_pk_fma_f16 v6, s4, v10, v6
	;; [unrolled: 1-line block ×4, first 2 shown]
	global_store_b128 v[12:13], v[4:7], off
	s_branch .LBB14_2
.LBB14_5:
	s_endpgm
	.section	.rodata,"a",@progbits
	.p2align	6, 0x0
	.amdhsa_kernel _ZL26rocblas_haxpy_mlt_8_kernelILi256EDF16_PKfPfEviT0_lT1_llT2_lli
		.amdhsa_group_segment_fixed_size 0
		.amdhsa_private_segment_fixed_size 0
		.amdhsa_kernarg_size 68
		.amdhsa_user_sgpr_count 2
		.amdhsa_user_sgpr_dispatch_ptr 0
		.amdhsa_user_sgpr_queue_ptr 0
		.amdhsa_user_sgpr_kernarg_segment_ptr 1
		.amdhsa_user_sgpr_dispatch_id 0
		.amdhsa_user_sgpr_kernarg_preload_length 0
		.amdhsa_user_sgpr_kernarg_preload_offset 0
		.amdhsa_user_sgpr_private_segment_size 0
		.amdhsa_wavefront_size32 1
		.amdhsa_uses_dynamic_stack 0
		.amdhsa_enable_private_segment 0
		.amdhsa_system_sgpr_workgroup_id_x 1
		.amdhsa_system_sgpr_workgroup_id_y 0
		.amdhsa_system_sgpr_workgroup_id_z 1
		.amdhsa_system_sgpr_workgroup_info 0
		.amdhsa_system_vgpr_workitem_id 0
		.amdhsa_next_free_vgpr 16
		.amdhsa_next_free_sgpr 20
		.amdhsa_named_barrier_count 0
		.amdhsa_reserve_vcc 1
		.amdhsa_float_round_mode_32 0
		.amdhsa_float_round_mode_16_64 0
		.amdhsa_float_denorm_mode_32 3
		.amdhsa_float_denorm_mode_16_64 3
		.amdhsa_fp16_overflow 0
		.amdhsa_memory_ordered 1
		.amdhsa_forward_progress 1
		.amdhsa_inst_pref_size 3
		.amdhsa_round_robin_scheduling 0
		.amdhsa_exception_fp_ieee_invalid_op 0
		.amdhsa_exception_fp_denorm_src 0
		.amdhsa_exception_fp_ieee_div_zero 0
		.amdhsa_exception_fp_ieee_overflow 0
		.amdhsa_exception_fp_ieee_underflow 0
		.amdhsa_exception_fp_ieee_inexact 0
		.amdhsa_exception_int_div_zero 0
	.end_amdhsa_kernel
	.section	.text._ZL26rocblas_haxpy_mlt_8_kernelILi256EDF16_PKfPfEviT0_lT1_llT2_lli,"axG",@progbits,_ZL26rocblas_haxpy_mlt_8_kernelILi256EDF16_PKfPfEviT0_lT1_llT2_lli,comdat
.Lfunc_end14:
	.size	_ZL26rocblas_haxpy_mlt_8_kernelILi256EDF16_PKfPfEviT0_lT1_llT2_lli, .Lfunc_end14-_ZL26rocblas_haxpy_mlt_8_kernelILi256EDF16_PKfPfEviT0_lT1_llT2_lli
                                        ; -- End function
	.set _ZL26rocblas_haxpy_mlt_8_kernelILi256EDF16_PKfPfEviT0_lT1_llT2_lli.num_vgpr, 16
	.set _ZL26rocblas_haxpy_mlt_8_kernelILi256EDF16_PKfPfEviT0_lT1_llT2_lli.num_agpr, 0
	.set _ZL26rocblas_haxpy_mlt_8_kernelILi256EDF16_PKfPfEviT0_lT1_llT2_lli.numbered_sgpr, 20
	.set _ZL26rocblas_haxpy_mlt_8_kernelILi256EDF16_PKfPfEviT0_lT1_llT2_lli.num_named_barrier, 0
	.set _ZL26rocblas_haxpy_mlt_8_kernelILi256EDF16_PKfPfEviT0_lT1_llT2_lli.private_seg_size, 0
	.set _ZL26rocblas_haxpy_mlt_8_kernelILi256EDF16_PKfPfEviT0_lT1_llT2_lli.uses_vcc, 1
	.set _ZL26rocblas_haxpy_mlt_8_kernelILi256EDF16_PKfPfEviT0_lT1_llT2_lli.uses_flat_scratch, 0
	.set _ZL26rocblas_haxpy_mlt_8_kernelILi256EDF16_PKfPfEviT0_lT1_llT2_lli.has_dyn_sized_stack, 0
	.set _ZL26rocblas_haxpy_mlt_8_kernelILi256EDF16_PKfPfEviT0_lT1_llT2_lli.has_recursion, 0
	.set _ZL26rocblas_haxpy_mlt_8_kernelILi256EDF16_PKfPfEviT0_lT1_llT2_lli.has_indirect_call, 0
	.section	.AMDGPU.csdata,"",@progbits
; Kernel info:
; codeLenInByte = 384
; TotalNumSgprs: 22
; NumVgprs: 16
; ScratchSize: 0
; MemoryBound: 1
; FloatMode: 240
; IeeeMode: 1
; LDSByteSize: 0 bytes/workgroup (compile time only)
; SGPRBlocks: 0
; VGPRBlocks: 0
; NumSGPRsForWavesPerEU: 22
; NumVGPRsForWavesPerEU: 16
; NamedBarCnt: 0
; Occupancy: 16
; WaveLimiterHint : 0
; COMPUTE_PGM_RSRC2:SCRATCH_EN: 0
; COMPUTE_PGM_RSRC2:USER_SGPR: 2
; COMPUTE_PGM_RSRC2:TRAP_HANDLER: 0
; COMPUTE_PGM_RSRC2:TGID_X_EN: 1
; COMPUTE_PGM_RSRC2:TGID_Y_EN: 0
; COMPUTE_PGM_RSRC2:TGID_Z_EN: 1
; COMPUTE_PGM_RSRC2:TIDIG_COMP_CNT: 0
	.section	.text._ZL26rocblas_haxpy_mod_8_kernelILi256EfPKfPfEviT0_lT1_llT2_lli,"axG",@progbits,_ZL26rocblas_haxpy_mod_8_kernelILi256EfPKfPfEviT0_lT1_llT2_lli,comdat
	.globl	_ZL26rocblas_haxpy_mod_8_kernelILi256EfPKfPfEviT0_lT1_llT2_lli ; -- Begin function _ZL26rocblas_haxpy_mod_8_kernelILi256EfPKfPfEviT0_lT1_llT2_lli
	.p2align	8
	.type	_ZL26rocblas_haxpy_mod_8_kernelILi256EfPKfPfEviT0_lT1_llT2_lli,@function
_ZL26rocblas_haxpy_mod_8_kernelILi256EfPKfPfEviT0_lT1_llT2_lli: ; @_ZL26rocblas_haxpy_mod_8_kernelILi256EfPKfPfEviT0_lT1_llT2_lli
; %bb.0:
	s_load_b32 s18, s[0:1], 0x40
	s_bfe_u32 s2, ttmp6, 0x40014
	s_lshr_b32 s3, ttmp7, 16
	s_add_co_i32 s2, s2, 1
	s_bfe_u32 s4, ttmp6, 0x40008
	s_mul_i32 s2, s3, s2
	s_getreg_b32 s19, hwreg(HW_REG_IB_STS2, 6, 4)
	s_add_co_i32 s4, s4, s2
	s_cmp_eq_u32 s19, 0
	s_cselect_b32 s2, s3, s4
	s_mov_b32 s3, 0
	s_wait_kmcnt 0x0
	s_cmp_ge_u32 s2, s18
	s_cbranch_scc1 .LBB15_5
; %bb.1:
	s_clause 0x2
	s_load_b256 s[4:11], s[0:1], 0x10
	s_load_b128 s[12:15], s[0:1], 0x30
	s_load_b64 s[16:17], s[0:1], 0x0
	s_wait_xcnt 0x0
	s_bfe_u32 s0, ttmp6, 0x4000c
	s_and_b32 s1, ttmp6, 15
	s_add_co_i32 s0, s0, 1
	v_mov_b32_e32 v1, 0
	s_mul_i32 s0, ttmp9, s0
	s_delay_alu instid0(SALU_CYCLE_1) | instskip(SKIP_2) | instid1(SALU_CYCLE_1)
	s_add_co_i32 s1, s1, s0
	s_cmp_eq_u32 s19, 0
	s_cselect_b32 s0, ttmp9, s1
	v_lshl_or_b32 v0, s0, 8, v0
	s_delay_alu instid0(VALU_DEP_1)
	v_lshlrev_b64_e32 v[2:3], 2, v[0:1]
	s_wait_kmcnt 0x0
	s_lshl_b64 s[0:1], s[6:7], 2
	s_lshl_b64 s[6:7], s[12:13], 2
	s_cmp_neq_f32 s17, 0
	s_add_nc_u64 s[0:1], s[4:5], s[0:1]
	s_mov_b32 s4, s16
	s_add_nc_u64 s[6:7], s[10:11], s[6:7]
	s_cselect_b32 s12, -1, 0
	s_ashr_i32 s5, s16, 31
	s_delay_alu instid0(SALU_CYCLE_1)
	v_cmp_gt_i64_e32 vcc_lo, s[4:5], v[0:1]
	v_add_nc_u64_e32 v[0:1], s[0:1], v[2:3]
	v_add_nc_u64_e32 v[2:3], s[6:7], v[2:3]
	s_and_b32 s0, s12, vcc_lo
	s_branch .LBB15_3
.LBB15_2:                               ;   in Loop: Header=BB15_3 Depth=1
	s_wait_xcnt 0x0
	s_or_b32 exec_lo, exec_lo, s1
	s_add_co_i32 s2, s2, 0x10000
	s_delay_alu instid0(SALU_CYCLE_1)
	s_cmp_lt_u32 s2, s18
	s_cbranch_scc0 .LBB15_5
.LBB15_3:                               ; =>This Inner Loop Header: Depth=1
	s_and_saveexec_b32 s1, s0
	s_cbranch_execz .LBB15_2
; %bb.4:                                ;   in Loop: Header=BB15_3 Depth=1
	s_mul_u64 s[4:5], s[8:9], s[2:3]
	s_mul_u64 s[6:7], s[14:15], s[2:3]
	v_lshl_add_u64 v[4:5], s[4:5], 2, v[0:1]
	v_lshl_add_u64 v[6:7], s[6:7], 2, v[2:3]
	global_load_b32 v8, v[4:5], off
	global_load_b32 v9, v[6:7], off
	s_wait_loadcnt 0x0
	v_fmac_f32_e32 v9, s17, v8
	global_store_b32 v[6:7], v9, off
	s_branch .LBB15_2
.LBB15_5:
	s_endpgm
	.section	.rodata,"a",@progbits
	.p2align	6, 0x0
	.amdhsa_kernel _ZL26rocblas_haxpy_mod_8_kernelILi256EfPKfPfEviT0_lT1_llT2_lli
		.amdhsa_group_segment_fixed_size 0
		.amdhsa_private_segment_fixed_size 0
		.amdhsa_kernarg_size 68
		.amdhsa_user_sgpr_count 2
		.amdhsa_user_sgpr_dispatch_ptr 0
		.amdhsa_user_sgpr_queue_ptr 0
		.amdhsa_user_sgpr_kernarg_segment_ptr 1
		.amdhsa_user_sgpr_dispatch_id 0
		.amdhsa_user_sgpr_kernarg_preload_length 0
		.amdhsa_user_sgpr_kernarg_preload_offset 0
		.amdhsa_user_sgpr_private_segment_size 0
		.amdhsa_wavefront_size32 1
		.amdhsa_uses_dynamic_stack 0
		.amdhsa_enable_private_segment 0
		.amdhsa_system_sgpr_workgroup_id_x 1
		.amdhsa_system_sgpr_workgroup_id_y 0
		.amdhsa_system_sgpr_workgroup_id_z 1
		.amdhsa_system_sgpr_workgroup_info 0
		.amdhsa_system_vgpr_workitem_id 0
		.amdhsa_next_free_vgpr 10
		.amdhsa_next_free_sgpr 20
		.amdhsa_named_barrier_count 0
		.amdhsa_reserve_vcc 1
		.amdhsa_float_round_mode_32 0
		.amdhsa_float_round_mode_16_64 0
		.amdhsa_float_denorm_mode_32 3
		.amdhsa_float_denorm_mode_16_64 3
		.amdhsa_fp16_overflow 0
		.amdhsa_memory_ordered 1
		.amdhsa_forward_progress 1
		.amdhsa_inst_pref_size 3
		.amdhsa_round_robin_scheduling 0
		.amdhsa_exception_fp_ieee_invalid_op 0
		.amdhsa_exception_fp_denorm_src 0
		.amdhsa_exception_fp_ieee_div_zero 0
		.amdhsa_exception_fp_ieee_overflow 0
		.amdhsa_exception_fp_ieee_underflow 0
		.amdhsa_exception_fp_ieee_inexact 0
		.amdhsa_exception_int_div_zero 0
	.end_amdhsa_kernel
	.section	.text._ZL26rocblas_haxpy_mod_8_kernelILi256EfPKfPfEviT0_lT1_llT2_lli,"axG",@progbits,_ZL26rocblas_haxpy_mod_8_kernelILi256EfPKfPfEviT0_lT1_llT2_lli,comdat
.Lfunc_end15:
	.size	_ZL26rocblas_haxpy_mod_8_kernelILi256EfPKfPfEviT0_lT1_llT2_lli, .Lfunc_end15-_ZL26rocblas_haxpy_mod_8_kernelILi256EfPKfPfEviT0_lT1_llT2_lli
                                        ; -- End function
	.set _ZL26rocblas_haxpy_mod_8_kernelILi256EfPKfPfEviT0_lT1_llT2_lli.num_vgpr, 10
	.set _ZL26rocblas_haxpy_mod_8_kernelILi256EfPKfPfEviT0_lT1_llT2_lli.num_agpr, 0
	.set _ZL26rocblas_haxpy_mod_8_kernelILi256EfPKfPfEviT0_lT1_llT2_lli.numbered_sgpr, 20
	.set _ZL26rocblas_haxpy_mod_8_kernelILi256EfPKfPfEviT0_lT1_llT2_lli.num_named_barrier, 0
	.set _ZL26rocblas_haxpy_mod_8_kernelILi256EfPKfPfEviT0_lT1_llT2_lli.private_seg_size, 0
	.set _ZL26rocblas_haxpy_mod_8_kernelILi256EfPKfPfEviT0_lT1_llT2_lli.uses_vcc, 1
	.set _ZL26rocblas_haxpy_mod_8_kernelILi256EfPKfPfEviT0_lT1_llT2_lli.uses_flat_scratch, 0
	.set _ZL26rocblas_haxpy_mod_8_kernelILi256EfPKfPfEviT0_lT1_llT2_lli.has_dyn_sized_stack, 0
	.set _ZL26rocblas_haxpy_mod_8_kernelILi256EfPKfPfEviT0_lT1_llT2_lli.has_recursion, 0
	.set _ZL26rocblas_haxpy_mod_8_kernelILi256EfPKfPfEviT0_lT1_llT2_lli.has_indirect_call, 0
	.section	.AMDGPU.csdata,"",@progbits
; Kernel info:
; codeLenInByte = 328
; TotalNumSgprs: 22
; NumVgprs: 10
; ScratchSize: 0
; MemoryBound: 0
; FloatMode: 240
; IeeeMode: 1
; LDSByteSize: 0 bytes/workgroup (compile time only)
; SGPRBlocks: 0
; VGPRBlocks: 0
; NumSGPRsForWavesPerEU: 22
; NumVGPRsForWavesPerEU: 10
; NamedBarCnt: 0
; Occupancy: 16
; WaveLimiterHint : 0
; COMPUTE_PGM_RSRC2:SCRATCH_EN: 0
; COMPUTE_PGM_RSRC2:USER_SGPR: 2
; COMPUTE_PGM_RSRC2:TRAP_HANDLER: 0
; COMPUTE_PGM_RSRC2:TGID_X_EN: 1
; COMPUTE_PGM_RSRC2:TGID_Y_EN: 0
; COMPUTE_PGM_RSRC2:TGID_Z_EN: 1
; COMPUTE_PGM_RSRC2:TIDIG_COMP_CNT: 0
	.section	.text._ZL22rocblas_saxpy_2_kernelILi256EfPKfS1_PfEviT1_lT2_llT3_lli,"axG",@progbits,_ZL22rocblas_saxpy_2_kernelILi256EfPKfS1_PfEviT1_lT2_llT3_lli,comdat
	.globl	_ZL22rocblas_saxpy_2_kernelILi256EfPKfS1_PfEviT1_lT2_llT3_lli ; -- Begin function _ZL22rocblas_saxpy_2_kernelILi256EfPKfS1_PfEviT1_lT2_llT3_lli
	.p2align	8
	.type	_ZL22rocblas_saxpy_2_kernelILi256EfPKfS1_PfEviT1_lT2_llT3_lli,@function
_ZL22rocblas_saxpy_2_kernelILi256EfPKfS1_PfEviT1_lT2_llT3_lli: ; @_ZL22rocblas_saxpy_2_kernelILi256EfPKfS1_PfEviT1_lT2_llT3_lli
; %bb.0:
	s_load_b32 s16, s[0:1], 0x48
	s_bfe_u32 s2, ttmp6, 0x40014
	s_lshr_b32 s3, ttmp7, 16
	s_add_co_i32 s2, s2, 1
	s_bfe_u32 s4, ttmp6, 0x40008
	s_mul_i32 s2, s3, s2
	s_getreg_b32 s17, hwreg(HW_REG_IB_STS2, 6, 4)
	s_add_co_i32 s4, s4, s2
	s_cmp_eq_u32 s17, 0
	s_cselect_b32 s2, s3, s4
	s_mov_b32 s3, 0
	s_wait_kmcnt 0x0
	s_cmp_ge_u32 s2, s16
	s_cbranch_scc1 .LBB16_9
; %bb.1:
	s_clause 0x4
	s_load_b32 s24, s[0:1], 0x0
	s_load_b128 s[4:7], s[0:1], 0x20
	s_load_b128 s[8:11], s[0:1], 0x38
	s_load_b64 s[18:19], s[0:1], 0x18
	s_load_b64 s[20:21], s[0:1], 0x30
	s_bfe_u32 s22, ttmp6, 0x4000c
	s_load_b128 s[12:15], s[0:1], 0x8
	s_add_co_i32 s22, s22, 1
	s_wait_xcnt 0x0
	s_and_b32 s0, ttmp6, 15
	s_mul_i32 s1, ttmp9, s22
	v_dual_mov_b32 v1, 0 :: v_dual_lshlrev_b32 v0, 1, v0
	s_add_co_i32 s0, s0, s1
	s_cmp_eq_u32 s17, 0
	s_cselect_b32 s0, ttmp9, s0
	s_delay_alu instid0(VALU_DEP_1) | instid1(SALU_CYCLE_1)
	v_lshl_or_b32 v0, s0, 9, v0
	s_wait_kmcnt 0x0
	s_add_co_i32 s22, s24, -1
	s_lshl_b64 s[4:5], s[4:5], 2
	s_ashr_i32 s23, s22, 31
	s_lshl_b64 s[8:9], s[8:9], 2
	v_cmp_eq_u64_e64 s0, s[22:23], v[0:1]
	v_cmp_gt_i64_e32 vcc_lo, s[22:23], v[0:1]
	v_lshlrev_b64_e32 v[0:1], 2, v[0:1]
	s_bitcmp1_b32 s24, 0
	s_add_nc_u64 s[4:5], s[18:19], s[4:5]
	s_cselect_b32 s1, -1, 0
	s_add_nc_u64 s[8:9], s[20:21], s[8:9]
	s_and_b32 s1, s1, s0
	s_branch .LBB16_4
.LBB16_2:                               ;   in Loop: Header=BB16_4 Depth=1
	s_wait_xcnt 0x0
	s_or_b32 exec_lo, exec_lo, s17
.LBB16_3:                               ;   in Loop: Header=BB16_4 Depth=1
	s_add_co_i32 s2, s2, 0x10000
	s_delay_alu instid0(SALU_CYCLE_1)
	s_cmp_lt_u32 s2, s16
	s_cbranch_scc0 .LBB16_9
.LBB16_4:                               ; =>This Inner Loop Header: Depth=1
	s_wait_xcnt 0x0
	s_mul_u64 s[18:19], s[14:15], s[2:3]
	s_delay_alu instid0(SALU_CYCLE_1) | instskip(NEXT) | instid1(SALU_CYCLE_1)
	s_lshl_b64 s[18:19], s[18:19], 2
	s_add_nc_u64 s[18:19], s[12:13], s[18:19]
	s_load_b32 s0, s[18:19], 0x0
	s_wait_kmcnt 0x0
	s_cmp_eq_f32 s0, 0
	s_cbranch_scc1 .LBB16_3
; %bb.5:                                ;   in Loop: Header=BB16_4 Depth=1
	s_wait_xcnt 0x0
	s_mul_u64 s[18:19], s[10:11], s[2:3]
	s_mul_u64 s[20:21], s[6:7], s[2:3]
	s_lshl_b64 s[18:19], s[18:19], 2
	s_lshl_b64 s[20:21], s[20:21], 2
	s_add_nc_u64 s[18:19], s[8:9], s[18:19]
	s_add_nc_u64 s[20:21], s[4:5], s[20:21]
	v_add_nc_u64_e32 v[2:3], s[18:19], v[0:1]
	v_add_nc_u64_e32 v[4:5], s[20:21], v[0:1]
	s_and_saveexec_b32 s17, vcc_lo
	s_cbranch_execz .LBB16_7
; %bb.6:                                ;   in Loop: Header=BB16_4 Depth=1
	global_load_b64 v[6:7], v[2:3], off
	global_load_b64 v[8:9], v[4:5], off
	s_wait_loadcnt 0x0
	v_pk_fma_f32 v[6:7], s[0:1], v[8:9], v[6:7] op_sel_hi:[0,1,1]
	global_store_b64 v[2:3], v[6:7], off
.LBB16_7:                               ;   in Loop: Header=BB16_4 Depth=1
	s_wait_xcnt 0x0
	s_or_b32 exec_lo, exec_lo, s17
	s_and_saveexec_b32 s17, s1
	s_cbranch_execz .LBB16_2
; %bb.8:                                ;   in Loop: Header=BB16_4 Depth=1
	global_load_b32 v6, v[2:3], off
	global_load_b32 v7, v[4:5], off
	s_wait_loadcnt 0x0
	v_fmac_f32_e32 v6, s0, v7
	global_store_b32 v[2:3], v6, off
	s_branch .LBB16_2
.LBB16_9:
	s_endpgm
	.section	.rodata,"a",@progbits
	.p2align	6, 0x0
	.amdhsa_kernel _ZL22rocblas_saxpy_2_kernelILi256EfPKfS1_PfEviT1_lT2_llT3_lli
		.amdhsa_group_segment_fixed_size 0
		.amdhsa_private_segment_fixed_size 0
		.amdhsa_kernarg_size 76
		.amdhsa_user_sgpr_count 2
		.amdhsa_user_sgpr_dispatch_ptr 0
		.amdhsa_user_sgpr_queue_ptr 0
		.amdhsa_user_sgpr_kernarg_segment_ptr 1
		.amdhsa_user_sgpr_dispatch_id 0
		.amdhsa_user_sgpr_kernarg_preload_length 0
		.amdhsa_user_sgpr_kernarg_preload_offset 0
		.amdhsa_user_sgpr_private_segment_size 0
		.amdhsa_wavefront_size32 1
		.amdhsa_uses_dynamic_stack 0
		.amdhsa_enable_private_segment 0
		.amdhsa_system_sgpr_workgroup_id_x 1
		.amdhsa_system_sgpr_workgroup_id_y 0
		.amdhsa_system_sgpr_workgroup_id_z 1
		.amdhsa_system_sgpr_workgroup_info 0
		.amdhsa_system_vgpr_workitem_id 0
		.amdhsa_next_free_vgpr 10
		.amdhsa_next_free_sgpr 25
		.amdhsa_named_barrier_count 0
		.amdhsa_reserve_vcc 1
		.amdhsa_float_round_mode_32 0
		.amdhsa_float_round_mode_16_64 0
		.amdhsa_float_denorm_mode_32 3
		.amdhsa_float_denorm_mode_16_64 3
		.amdhsa_fp16_overflow 0
		.amdhsa_memory_ordered 1
		.amdhsa_forward_progress 1
		.amdhsa_inst_pref_size 4
		.amdhsa_round_robin_scheduling 0
		.amdhsa_exception_fp_ieee_invalid_op 0
		.amdhsa_exception_fp_denorm_src 0
		.amdhsa_exception_fp_ieee_div_zero 0
		.amdhsa_exception_fp_ieee_overflow 0
		.amdhsa_exception_fp_ieee_underflow 0
		.amdhsa_exception_fp_ieee_inexact 0
		.amdhsa_exception_int_div_zero 0
	.end_amdhsa_kernel
	.section	.text._ZL22rocblas_saxpy_2_kernelILi256EfPKfS1_PfEviT1_lT2_llT3_lli,"axG",@progbits,_ZL22rocblas_saxpy_2_kernelILi256EfPKfS1_PfEviT1_lT2_llT3_lli,comdat
.Lfunc_end16:
	.size	_ZL22rocblas_saxpy_2_kernelILi256EfPKfS1_PfEviT1_lT2_llT3_lli, .Lfunc_end16-_ZL22rocblas_saxpy_2_kernelILi256EfPKfS1_PfEviT1_lT2_llT3_lli
                                        ; -- End function
	.set _ZL22rocblas_saxpy_2_kernelILi256EfPKfS1_PfEviT1_lT2_llT3_lli.num_vgpr, 10
	.set _ZL22rocblas_saxpy_2_kernelILi256EfPKfS1_PfEviT1_lT2_llT3_lli.num_agpr, 0
	.set _ZL22rocblas_saxpy_2_kernelILi256EfPKfS1_PfEviT1_lT2_llT3_lli.numbered_sgpr, 25
	.set _ZL22rocblas_saxpy_2_kernelILi256EfPKfS1_PfEviT1_lT2_llT3_lli.num_named_barrier, 0
	.set _ZL22rocblas_saxpy_2_kernelILi256EfPKfS1_PfEviT1_lT2_llT3_lli.private_seg_size, 0
	.set _ZL22rocblas_saxpy_2_kernelILi256EfPKfS1_PfEviT1_lT2_llT3_lli.uses_vcc, 1
	.set _ZL22rocblas_saxpy_2_kernelILi256EfPKfS1_PfEviT1_lT2_llT3_lli.uses_flat_scratch, 0
	.set _ZL22rocblas_saxpy_2_kernelILi256EfPKfS1_PfEviT1_lT2_llT3_lli.has_dyn_sized_stack, 0
	.set _ZL22rocblas_saxpy_2_kernelILi256EfPKfS1_PfEviT1_lT2_llT3_lli.has_recursion, 0
	.set _ZL22rocblas_saxpy_2_kernelILi256EfPKfS1_PfEviT1_lT2_llT3_lli.has_indirect_call, 0
	.section	.AMDGPU.csdata,"",@progbits
; Kernel info:
; codeLenInByte = 464
; TotalNumSgprs: 27
; NumVgprs: 10
; ScratchSize: 0
; MemoryBound: 0
; FloatMode: 240
; IeeeMode: 1
; LDSByteSize: 0 bytes/workgroup (compile time only)
; SGPRBlocks: 0
; VGPRBlocks: 0
; NumSGPRsForWavesPerEU: 27
; NumVGPRsForWavesPerEU: 10
; NamedBarCnt: 0
; Occupancy: 16
; WaveLimiterHint : 0
; COMPUTE_PGM_RSRC2:SCRATCH_EN: 0
; COMPUTE_PGM_RSRC2:USER_SGPR: 2
; COMPUTE_PGM_RSRC2:TRAP_HANDLER: 0
; COMPUTE_PGM_RSRC2:TGID_X_EN: 1
; COMPUTE_PGM_RSRC2:TGID_Y_EN: 0
; COMPUTE_PGM_RSRC2:TGID_Z_EN: 1
; COMPUTE_PGM_RSRC2:TIDIG_COMP_CNT: 0
	.section	.text._ZL22rocblas_saxpy_2_kernelILi256EffPKfPfEviT1_lT2_llT3_lli,"axG",@progbits,_ZL22rocblas_saxpy_2_kernelILi256EffPKfPfEviT1_lT2_llT3_lli,comdat
	.globl	_ZL22rocblas_saxpy_2_kernelILi256EffPKfPfEviT1_lT2_llT3_lli ; -- Begin function _ZL22rocblas_saxpy_2_kernelILi256EffPKfPfEviT1_lT2_llT3_lli
	.p2align	8
	.type	_ZL22rocblas_saxpy_2_kernelILi256EffPKfPfEviT1_lT2_llT3_lli,@function
_ZL22rocblas_saxpy_2_kernelILi256EffPKfPfEviT1_lT2_llT3_lli: ; @_ZL22rocblas_saxpy_2_kernelILi256EffPKfPfEviT1_lT2_llT3_lli
; %bb.0:
	s_load_b32 s14, s[0:1], 0x40
	s_bfe_u32 s2, ttmp6, 0x40014
	s_lshr_b32 s3, ttmp7, 16
	s_add_co_i32 s2, s2, 1
	s_bfe_u32 s4, ttmp6, 0x40008
	s_mul_i32 s2, s3, s2
	s_getreg_b32 s15, hwreg(HW_REG_IB_STS2, 6, 4)
	s_add_co_i32 s4, s4, s2
	s_cmp_eq_u32 s15, 0
	s_cselect_b32 s2, s3, s4
	s_mov_b32 s3, 0
	s_wait_kmcnt 0x0
	s_cmp_ge_u32 s2, s14
	s_cbranch_scc1 .LBB17_9
; %bb.1:
	s_clause 0x2
	s_load_b128 s[4:7], s[0:1], 0x18
	s_load_b128 s[8:11], s[0:1], 0x30
	s_load_b64 s[12:13], s[0:1], 0x0
	s_bfe_u32 s18, ttmp6, 0x4000c
	s_and_b32 s20, ttmp6, 15
	s_add_co_i32 s18, s18, 1
	s_load_b64 s[16:17], s[0:1], 0x10
	s_mul_i32 s21, ttmp9, s18
	s_load_b64 s[18:19], s[0:1], 0x28
	s_add_co_i32 s20, s20, s21
	s_cmp_eq_u32 s15, 0
	v_dual_mov_b32 v3, 0 :: v_dual_lshlrev_b32 v0, 1, v0
	s_wait_xcnt 0x0
	s_cselect_b32 s0, ttmp9, s20
	s_delay_alu instid0(VALU_DEP_1) | instid1(SALU_CYCLE_1)
	v_lshl_or_b32 v2, s0, 9, v0
	s_wait_kmcnt 0x0
	s_lshl_b64 s[4:5], s[4:5], 2
	s_lshl_b64 s[8:9], s[8:9], 2
	s_cmp_neq_f32 s13, 0
	v_lshlrev_b64_e32 v[0:1], 2, v[2:3]
	s_add_nc_u64 s[4:5], s[16:17], s[4:5]
	s_cselect_b32 s1, -1, 0
	s_add_co_i32 s20, s12, -1
	s_add_nc_u64 s[8:9], s[18:19], s[8:9]
	s_ashr_i32 s21, s20, 31
	s_bitcmp1_b32 s12, 0
	v_cmp_eq_u64_e32 vcc_lo, s[20:21], v[2:3]
	v_cmp_gt_i64_e64 s0, s[20:21], v[2:3]
	s_cselect_b32 s12, -1, 0
	s_delay_alu instid0(SALU_CYCLE_1)
	s_and_b32 s15, s12, vcc_lo
	s_mov_b32 s12, s13
	s_branch .LBB17_4
.LBB17_2:                               ;   in Loop: Header=BB17_4 Depth=1
	s_wait_xcnt 0x0
	s_or_b32 exec_lo, exec_lo, s16
.LBB17_3:                               ;   in Loop: Header=BB17_4 Depth=1
	s_add_co_i32 s2, s2, 0x10000
	s_delay_alu instid0(SALU_CYCLE_1)
	s_cmp_lt_u32 s2, s14
	s_cbranch_scc0 .LBB17_9
.LBB17_4:                               ; =>This Inner Loop Header: Depth=1
	s_and_not1_b32 vcc_lo, exec_lo, s1
	s_cbranch_vccnz .LBB17_3
; %bb.5:                                ;   in Loop: Header=BB17_4 Depth=1
	s_mul_u64 s[16:17], s[10:11], s[2:3]
	s_mul_u64 s[18:19], s[6:7], s[2:3]
	s_lshl_b64 s[16:17], s[16:17], 2
	s_lshl_b64 s[18:19], s[18:19], 2
	s_add_nc_u64 s[16:17], s[8:9], s[16:17]
	s_add_nc_u64 s[18:19], s[4:5], s[18:19]
	v_add_nc_u64_e32 v[2:3], s[16:17], v[0:1]
	v_add_nc_u64_e32 v[4:5], s[18:19], v[0:1]
	s_and_saveexec_b32 s16, s0
	s_cbranch_execz .LBB17_7
; %bb.6:                                ;   in Loop: Header=BB17_4 Depth=1
	global_load_b64 v[6:7], v[2:3], off
	global_load_b64 v[8:9], v[4:5], off
	v_mov_b64_e32 v[10:11], s[12:13]
	s_wait_loadcnt 0x0
	s_delay_alu instid0(VALU_DEP_1)
	v_pk_fma_f32 v[6:7], v[10:11], v[8:9], v[6:7]
	global_store_b64 v[2:3], v[6:7], off
.LBB17_7:                               ;   in Loop: Header=BB17_4 Depth=1
	s_wait_xcnt 0x0
	s_or_b32 exec_lo, exec_lo, s16
	s_and_saveexec_b32 s16, s15
	s_cbranch_execz .LBB17_2
; %bb.8:                                ;   in Loop: Header=BB17_4 Depth=1
	global_load_b32 v6, v[2:3], off
	global_load_b32 v7, v[4:5], off
	s_wait_loadcnt 0x0
	v_fmac_f32_e32 v6, s13, v7
	global_store_b32 v[2:3], v6, off
	s_branch .LBB17_2
.LBB17_9:
	s_endpgm
	.section	.rodata,"a",@progbits
	.p2align	6, 0x0
	.amdhsa_kernel _ZL22rocblas_saxpy_2_kernelILi256EffPKfPfEviT1_lT2_llT3_lli
		.amdhsa_group_segment_fixed_size 0
		.amdhsa_private_segment_fixed_size 0
		.amdhsa_kernarg_size 68
		.amdhsa_user_sgpr_count 2
		.amdhsa_user_sgpr_dispatch_ptr 0
		.amdhsa_user_sgpr_queue_ptr 0
		.amdhsa_user_sgpr_kernarg_segment_ptr 1
		.amdhsa_user_sgpr_dispatch_id 0
		.amdhsa_user_sgpr_kernarg_preload_length 0
		.amdhsa_user_sgpr_kernarg_preload_offset 0
		.amdhsa_user_sgpr_private_segment_size 0
		.amdhsa_wavefront_size32 1
		.amdhsa_uses_dynamic_stack 0
		.amdhsa_enable_private_segment 0
		.amdhsa_system_sgpr_workgroup_id_x 1
		.amdhsa_system_sgpr_workgroup_id_y 0
		.amdhsa_system_sgpr_workgroup_id_z 1
		.amdhsa_system_sgpr_workgroup_info 0
		.amdhsa_system_vgpr_workitem_id 0
		.amdhsa_next_free_vgpr 12
		.amdhsa_next_free_sgpr 22
		.amdhsa_named_barrier_count 0
		.amdhsa_reserve_vcc 1
		.amdhsa_float_round_mode_32 0
		.amdhsa_float_round_mode_16_64 0
		.amdhsa_float_denorm_mode_32 3
		.amdhsa_float_denorm_mode_16_64 3
		.amdhsa_fp16_overflow 0
		.amdhsa_memory_ordered 1
		.amdhsa_forward_progress 1
		.amdhsa_inst_pref_size 4
		.amdhsa_round_robin_scheduling 0
		.amdhsa_exception_fp_ieee_invalid_op 0
		.amdhsa_exception_fp_denorm_src 0
		.amdhsa_exception_fp_ieee_div_zero 0
		.amdhsa_exception_fp_ieee_overflow 0
		.amdhsa_exception_fp_ieee_underflow 0
		.amdhsa_exception_fp_ieee_inexact 0
		.amdhsa_exception_int_div_zero 0
	.end_amdhsa_kernel
	.section	.text._ZL22rocblas_saxpy_2_kernelILi256EffPKfPfEviT1_lT2_llT3_lli,"axG",@progbits,_ZL22rocblas_saxpy_2_kernelILi256EffPKfPfEviT1_lT2_llT3_lli,comdat
.Lfunc_end17:
	.size	_ZL22rocblas_saxpy_2_kernelILi256EffPKfPfEviT1_lT2_llT3_lli, .Lfunc_end17-_ZL22rocblas_saxpy_2_kernelILi256EffPKfPfEviT1_lT2_llT3_lli
                                        ; -- End function
	.set _ZL22rocblas_saxpy_2_kernelILi256EffPKfPfEviT1_lT2_llT3_lli.num_vgpr, 12
	.set _ZL22rocblas_saxpy_2_kernelILi256EffPKfPfEviT1_lT2_llT3_lli.num_agpr, 0
	.set _ZL22rocblas_saxpy_2_kernelILi256EffPKfPfEviT1_lT2_llT3_lli.numbered_sgpr, 22
	.set _ZL22rocblas_saxpy_2_kernelILi256EffPKfPfEviT1_lT2_llT3_lli.num_named_barrier, 0
	.set _ZL22rocblas_saxpy_2_kernelILi256EffPKfPfEviT1_lT2_llT3_lli.private_seg_size, 0
	.set _ZL22rocblas_saxpy_2_kernelILi256EffPKfPfEviT1_lT2_llT3_lli.uses_vcc, 1
	.set _ZL22rocblas_saxpy_2_kernelILi256EffPKfPfEviT1_lT2_llT3_lli.uses_flat_scratch, 0
	.set _ZL22rocblas_saxpy_2_kernelILi256EffPKfPfEviT1_lT2_llT3_lli.has_dyn_sized_stack, 0
	.set _ZL22rocblas_saxpy_2_kernelILi256EffPKfPfEviT1_lT2_llT3_lli.has_recursion, 0
	.set _ZL22rocblas_saxpy_2_kernelILi256EffPKfPfEviT1_lT2_llT3_lli.has_indirect_call, 0
	.section	.AMDGPU.csdata,"",@progbits
; Kernel info:
; codeLenInByte = 444
; TotalNumSgprs: 24
; NumVgprs: 12
; ScratchSize: 0
; MemoryBound: 0
; FloatMode: 240
; IeeeMode: 1
; LDSByteSize: 0 bytes/workgroup (compile time only)
; SGPRBlocks: 0
; VGPRBlocks: 0
; NumSGPRsForWavesPerEU: 24
; NumVGPRsForWavesPerEU: 12
; NamedBarCnt: 0
; Occupancy: 16
; WaveLimiterHint : 0
; COMPUTE_PGM_RSRC2:SCRATCH_EN: 0
; COMPUTE_PGM_RSRC2:USER_SGPR: 2
; COMPUTE_PGM_RSRC2:TRAP_HANDLER: 0
; COMPUTE_PGM_RSRC2:TGID_X_EN: 1
; COMPUTE_PGM_RSRC2:TGID_Y_EN: 0
; COMPUTE_PGM_RSRC2:TGID_Z_EN: 1
; COMPUTE_PGM_RSRC2:TIDIG_COMP_CNT: 0
	.section	.text._ZL27rocblas_axpy_kernel_batchedIiLi128ELi8EfPKfS1_PfEviT3_lT4_lT_lT5_lS5_li,"axG",@progbits,_ZL27rocblas_axpy_kernel_batchedIiLi128ELi8EfPKfS1_PfEviT3_lT4_lT_lT5_lS5_li,comdat
	.globl	_ZL27rocblas_axpy_kernel_batchedIiLi128ELi8EfPKfS1_PfEviT3_lT4_lT_lT5_lS5_li ; -- Begin function _ZL27rocblas_axpy_kernel_batchedIiLi128ELi8EfPKfS1_PfEviT3_lT4_lT_lT5_lS5_li
	.p2align	8
	.type	_ZL27rocblas_axpy_kernel_batchedIiLi128ELi8EfPKfS1_PfEviT3_lT4_lT_lT5_lS5_li,@function
_ZL27rocblas_axpy_kernel_batchedIiLi128ELi8EfPKfS1_PfEviT3_lT4_lT_lT5_lS5_li: ; @_ZL27rocblas_axpy_kernel_batchedIiLi128ELi8EfPKfS1_PfEviT3_lT4_lT_lT5_lS5_li
; %bb.0:
	s_load_b32 s4, s[0:1], 0x0
	s_bfe_u32 s2, ttmp6, 0x4000c
	s_and_b32 s3, ttmp6, 15
	s_add_co_i32 s5, s2, 1
	s_getreg_b32 s2, hwreg(HW_REG_IB_STS2, 6, 4)
	s_mul_i32 s5, ttmp9, s5
	v_and_b32_e32 v1, 0x3ff, v0
	s_add_co_i32 s3, s3, s5
	v_mov_b32_e32 v3, 0
	s_wait_kmcnt 0x0
	s_ashr_i32 s5, s4, 31
	s_cmp_eq_u32 s2, 0
	s_cselect_b32 s3, ttmp9, s3
	s_delay_alu instid0(SALU_CYCLE_1) | instskip(SKIP_1) | instid1(VALU_DEP_1)
	v_lshl_add_u32 v2, s3, 7, v1
	s_mov_b32 s3, exec_lo
	v_cmpx_gt_i64_e64 s[4:5], v[2:3]
	s_cbranch_execz .LBB18_15
; %bb.1:
	s_load_b32 s16, s[0:1], 0x58
	s_bfe_u32 s3, ttmp6, 0x40014
	v_lshrrev_b32_e32 v0, 8, v0
	s_lshr_b32 s4, ttmp7, 16
	s_add_co_i32 s3, s3, 1
	s_bfe_u32 s5, ttmp6, 0x40008
	s_mul_i32 s3, s4, s3
	v_and_b32_e32 v0, 0xffc, v0
	s_add_co_i32 s5, s5, s3
	s_cmp_eq_u32 s2, 0
	s_cselect_b32 s2, s4, s5
	s_delay_alu instid0(VALU_DEP_1) | instid1(SALU_CYCLE_1)
	v_lshl_add_u32 v0, s2, 5, v0
	s_wait_kmcnt 0x0
	s_delay_alu instid0(VALU_DEP_1)
	v_cmp_gt_u32_e32 vcc_lo, s16, v0
	s_and_b32 exec_lo, exec_lo, vcc_lo
	s_cbranch_execz .LBB18_15
; %bb.2:
	s_clause 0x4
	s_load_b32 s4, s[0:1], 0x28
	s_load_b96 s[20:22], s[0:1], 0x40
	s_load_b128 s[12:15], s[0:1], 0x30
	s_load_b64 s[2:3], s[0:1], 0x50
	s_load_b32 s17, s[0:1], 0x68
	v_mov_b32_e32 v1, 0
	s_wait_kmcnt 0x0
	s_ashr_i32 s5, s4, 31
	s_ashr_i32 s7, s22, 31
	s_mov_b32 s6, s22
	v_mul_u64_e32 v[4:5], s[4:5], v[2:3]
	v_mul_u64_e32 v[6:7], s[6:7], v[2:3]
	s_load_b256 s[4:11], s[0:1], 0x8
	s_wait_kmcnt 0x0
	s_lshl_b64 s[0:1], s[10:11], 2
	s_lshl_b64 s[10:11], s[20:21], 2
	s_add_nc_u64 s[0:1], s[8:9], s[0:1]
	s_add_nc_u64 s[8:9], s[14:15], s[10:11]
	s_delay_alu instid0(VALU_DEP_2) | instskip(NEXT) | instid1(VALU_DEP_2)
	v_lshl_add_u64 v[2:3], v[4:5], 2, s[0:1]
	v_lshl_add_u64 v[4:5], v[6:7], 2, s[8:9]
	s_lshl_b32 s0, s17, 5
	s_mov_b32 s1, 0
	s_branch .LBB18_4
.LBB18_3:                               ;   in Loop: Header=BB18_4 Depth=1
	s_wait_xcnt 0x0
	s_or_b32 exec_lo, exec_lo, s8
	v_add_nc_u32_e32 v0, s0, v0
	s_delay_alu instid0(VALU_DEP_1) | instskip(SKIP_1) | instid1(SALU_CYCLE_1)
	v_cmp_le_u32_e32 vcc_lo, s16, v0
	s_or_b32 s1, vcc_lo, s1
	s_and_not1_b32 exec_lo, exec_lo, s1
	s_cbranch_execz .LBB18_15
.LBB18_4:                               ; =>This Inner Loop Header: Depth=1
	v_mul_u64_e32 v[6:7], s[6:7], v[0:1]
	s_mov_b32 s8, exec_lo
	s_delay_alu instid0(VALU_DEP_1)
	v_lshl_add_u64 v[6:7], v[6:7], 2, s[4:5]
	global_load_b32 v6, v[6:7], off
	s_wait_loadcnt 0x0
	s_wait_xcnt 0x0
	v_cmpx_neq_f32_e32 0, v6
	s_cbranch_execz .LBB18_6
; %bb.5:                                ;   in Loop: Header=BB18_4 Depth=1
	v_mul_u64_e32 v[8:9], s[2:3], v[0:1]
	v_mul_u64_e32 v[10:11], s[12:13], v[0:1]
	s_delay_alu instid0(VALU_DEP_2) | instskip(NEXT) | instid1(VALU_DEP_2)
	v_lshl_add_u64 v[8:9], v[8:9], 2, v[4:5]
	v_lshl_add_u64 v[10:11], v[10:11], 2, v[2:3]
	global_load_b32 v7, v[8:9], off
	global_load_b32 v12, v[10:11], off
	s_wait_loadcnt 0x0
	v_fmac_f32_e32 v7, v6, v12
	global_store_b32 v[8:9], v7, off
.LBB18_6:                               ;   in Loop: Header=BB18_4 Depth=1
	s_wait_xcnt 0x0
	s_or_b32 exec_lo, exec_lo, s8
	v_add_nc_u32_e32 v6, 1, v0
	s_mov_b32 s8, exec_lo
	s_delay_alu instid0(VALU_DEP_1)
	v_cmpx_gt_u32_e64 s16, v6
	s_cbranch_execz .LBB18_9
; %bb.7:                                ;   in Loop: Header=BB18_4 Depth=1
	v_mov_b32_e32 v7, v1
	s_delay_alu instid0(VALU_DEP_1) | instskip(NEXT) | instid1(VALU_DEP_1)
	v_mul_u64_e32 v[8:9], s[6:7], v[6:7]
	v_lshl_add_u64 v[8:9], v[8:9], 2, s[4:5]
	global_load_b32 v8, v[8:9], off
	s_wait_loadcnt 0x0
	v_cmp_neq_f32_e32 vcc_lo, 0, v8
	s_wait_xcnt 0x0
	s_and_b32 exec_lo, exec_lo, vcc_lo
	s_cbranch_execz .LBB18_9
; %bb.8:                                ;   in Loop: Header=BB18_4 Depth=1
	v_mul_u64_e32 v[10:11], s[2:3], v[6:7]
	v_mul_u64_e32 v[6:7], s[12:13], v[6:7]
	s_delay_alu instid0(VALU_DEP_2) | instskip(NEXT) | instid1(VALU_DEP_2)
	v_lshl_add_u64 v[10:11], v[10:11], 2, v[4:5]
	v_lshl_add_u64 v[6:7], v[6:7], 2, v[2:3]
	global_load_b32 v9, v[10:11], off
	global_load_b32 v12, v[6:7], off
	s_wait_loadcnt 0x0
	v_fmac_f32_e32 v9, v8, v12
	global_store_b32 v[10:11], v9, off
.LBB18_9:                               ;   in Loop: Header=BB18_4 Depth=1
	s_wait_xcnt 0x0
	s_or_b32 exec_lo, exec_lo, s8
	v_add_nc_u32_e32 v6, 2, v0
	s_mov_b32 s8, exec_lo
	s_delay_alu instid0(VALU_DEP_1)
	v_cmpx_gt_u32_e64 s16, v6
	s_cbranch_execz .LBB18_12
; %bb.10:                               ;   in Loop: Header=BB18_4 Depth=1
	v_mov_b32_e32 v7, v1
	s_delay_alu instid0(VALU_DEP_1) | instskip(NEXT) | instid1(VALU_DEP_1)
	v_mul_u64_e32 v[8:9], s[6:7], v[6:7]
	v_lshl_add_u64 v[8:9], v[8:9], 2, s[4:5]
	global_load_b32 v8, v[8:9], off
	s_wait_loadcnt 0x0
	v_cmp_neq_f32_e32 vcc_lo, 0, v8
	s_wait_xcnt 0x0
	s_and_b32 exec_lo, exec_lo, vcc_lo
	s_cbranch_execz .LBB18_12
; %bb.11:                               ;   in Loop: Header=BB18_4 Depth=1
	v_mul_u64_e32 v[10:11], s[2:3], v[6:7]
	v_mul_u64_e32 v[6:7], s[12:13], v[6:7]
	s_delay_alu instid0(VALU_DEP_2) | instskip(NEXT) | instid1(VALU_DEP_2)
	v_lshl_add_u64 v[10:11], v[10:11], 2, v[4:5]
	v_lshl_add_u64 v[6:7], v[6:7], 2, v[2:3]
	global_load_b32 v9, v[10:11], off
	global_load_b32 v12, v[6:7], off
	s_wait_loadcnt 0x0
	v_fmac_f32_e32 v9, v8, v12
	global_store_b32 v[10:11], v9, off
.LBB18_12:                              ;   in Loop: Header=BB18_4 Depth=1
	s_wait_xcnt 0x0
	s_or_b32 exec_lo, exec_lo, s8
	v_add_nc_u32_e32 v6, 3, v0
	s_mov_b32 s8, exec_lo
	s_delay_alu instid0(VALU_DEP_1)
	v_cmpx_gt_u32_e64 s16, v6
	s_cbranch_execz .LBB18_3
; %bb.13:                               ;   in Loop: Header=BB18_4 Depth=1
	v_mov_b32_e32 v7, v1
	s_delay_alu instid0(VALU_DEP_1) | instskip(NEXT) | instid1(VALU_DEP_1)
	v_mul_u64_e32 v[8:9], s[6:7], v[6:7]
	v_lshl_add_u64 v[8:9], v[8:9], 2, s[4:5]
	global_load_b32 v8, v[8:9], off
	s_wait_loadcnt 0x0
	v_cmp_neq_f32_e32 vcc_lo, 0, v8
	s_wait_xcnt 0x0
	s_and_b32 exec_lo, exec_lo, vcc_lo
	s_cbranch_execz .LBB18_3
; %bb.14:                               ;   in Loop: Header=BB18_4 Depth=1
	v_mul_u64_e32 v[10:11], s[2:3], v[6:7]
	v_mul_u64_e32 v[6:7], s[12:13], v[6:7]
	s_delay_alu instid0(VALU_DEP_2) | instskip(NEXT) | instid1(VALU_DEP_2)
	v_lshl_add_u64 v[10:11], v[10:11], 2, v[4:5]
	v_lshl_add_u64 v[6:7], v[6:7], 2, v[2:3]
	global_load_b32 v9, v[10:11], off
	global_load_b32 v12, v[6:7], off
	s_wait_loadcnt 0x0
	v_fmac_f32_e32 v9, v8, v12
	global_store_b32 v[10:11], v9, off
	s_branch .LBB18_3
.LBB18_15:
	s_endpgm
	.section	.rodata,"a",@progbits
	.p2align	6, 0x0
	.amdhsa_kernel _ZL27rocblas_axpy_kernel_batchedIiLi128ELi8EfPKfS1_PfEviT3_lT4_lT_lT5_lS5_li
		.amdhsa_group_segment_fixed_size 0
		.amdhsa_private_segment_fixed_size 0
		.amdhsa_kernarg_size 352
		.amdhsa_user_sgpr_count 2
		.amdhsa_user_sgpr_dispatch_ptr 0
		.amdhsa_user_sgpr_queue_ptr 0
		.amdhsa_user_sgpr_kernarg_segment_ptr 1
		.amdhsa_user_sgpr_dispatch_id 0
		.amdhsa_user_sgpr_kernarg_preload_length 0
		.amdhsa_user_sgpr_kernarg_preload_offset 0
		.amdhsa_user_sgpr_private_segment_size 0
		.amdhsa_wavefront_size32 1
		.amdhsa_uses_dynamic_stack 0
		.amdhsa_enable_private_segment 0
		.amdhsa_system_sgpr_workgroup_id_x 1
		.amdhsa_system_sgpr_workgroup_id_y 0
		.amdhsa_system_sgpr_workgroup_id_z 1
		.amdhsa_system_sgpr_workgroup_info 0
		.amdhsa_system_vgpr_workitem_id 1
		.amdhsa_next_free_vgpr 13
		.amdhsa_next_free_sgpr 23
		.amdhsa_named_barrier_count 0
		.amdhsa_reserve_vcc 1
		.amdhsa_float_round_mode_32 0
		.amdhsa_float_round_mode_16_64 0
		.amdhsa_float_denorm_mode_32 3
		.amdhsa_float_denorm_mode_16_64 3
		.amdhsa_fp16_overflow 0
		.amdhsa_memory_ordered 1
		.amdhsa_forward_progress 1
		.amdhsa_inst_pref_size 8
		.amdhsa_round_robin_scheduling 0
		.amdhsa_exception_fp_ieee_invalid_op 0
		.amdhsa_exception_fp_denorm_src 0
		.amdhsa_exception_fp_ieee_div_zero 0
		.amdhsa_exception_fp_ieee_overflow 0
		.amdhsa_exception_fp_ieee_underflow 0
		.amdhsa_exception_fp_ieee_inexact 0
		.amdhsa_exception_int_div_zero 0
	.end_amdhsa_kernel
	.section	.text._ZL27rocblas_axpy_kernel_batchedIiLi128ELi8EfPKfS1_PfEviT3_lT4_lT_lT5_lS5_li,"axG",@progbits,_ZL27rocblas_axpy_kernel_batchedIiLi128ELi8EfPKfS1_PfEviT3_lT4_lT_lT5_lS5_li,comdat
.Lfunc_end18:
	.size	_ZL27rocblas_axpy_kernel_batchedIiLi128ELi8EfPKfS1_PfEviT3_lT4_lT_lT5_lS5_li, .Lfunc_end18-_ZL27rocblas_axpy_kernel_batchedIiLi128ELi8EfPKfS1_PfEviT3_lT4_lT_lT5_lS5_li
                                        ; -- End function
	.set _ZL27rocblas_axpy_kernel_batchedIiLi128ELi8EfPKfS1_PfEviT3_lT4_lT_lT5_lS5_li.num_vgpr, 13
	.set _ZL27rocblas_axpy_kernel_batchedIiLi128ELi8EfPKfS1_PfEviT3_lT4_lT_lT5_lS5_li.num_agpr, 0
	.set _ZL27rocblas_axpy_kernel_batchedIiLi128ELi8EfPKfS1_PfEviT3_lT4_lT_lT5_lS5_li.numbered_sgpr, 23
	.set _ZL27rocblas_axpy_kernel_batchedIiLi128ELi8EfPKfS1_PfEviT3_lT4_lT_lT5_lS5_li.num_named_barrier, 0
	.set _ZL27rocblas_axpy_kernel_batchedIiLi128ELi8EfPKfS1_PfEviT3_lT4_lT_lT5_lS5_li.private_seg_size, 0
	.set _ZL27rocblas_axpy_kernel_batchedIiLi128ELi8EfPKfS1_PfEviT3_lT4_lT_lT5_lS5_li.uses_vcc, 1
	.set _ZL27rocblas_axpy_kernel_batchedIiLi128ELi8EfPKfS1_PfEviT3_lT4_lT_lT5_lS5_li.uses_flat_scratch, 0
	.set _ZL27rocblas_axpy_kernel_batchedIiLi128ELi8EfPKfS1_PfEviT3_lT4_lT_lT5_lS5_li.has_dyn_sized_stack, 0
	.set _ZL27rocblas_axpy_kernel_batchedIiLi128ELi8EfPKfS1_PfEviT3_lT4_lT_lT5_lS5_li.has_recursion, 0
	.set _ZL27rocblas_axpy_kernel_batchedIiLi128ELi8EfPKfS1_PfEviT3_lT4_lT_lT5_lS5_li.has_indirect_call, 0
	.section	.AMDGPU.csdata,"",@progbits
; Kernel info:
; codeLenInByte = 944
; TotalNumSgprs: 25
; NumVgprs: 13
; ScratchSize: 0
; MemoryBound: 0
; FloatMode: 240
; IeeeMode: 1
; LDSByteSize: 0 bytes/workgroup (compile time only)
; SGPRBlocks: 0
; VGPRBlocks: 0
; NumSGPRsForWavesPerEU: 25
; NumVGPRsForWavesPerEU: 13
; NamedBarCnt: 0
; Occupancy: 16
; WaveLimiterHint : 0
; COMPUTE_PGM_RSRC2:SCRATCH_EN: 0
; COMPUTE_PGM_RSRC2:USER_SGPR: 2
; COMPUTE_PGM_RSRC2:TRAP_HANDLER: 0
; COMPUTE_PGM_RSRC2:TGID_X_EN: 1
; COMPUTE_PGM_RSRC2:TGID_Y_EN: 0
; COMPUTE_PGM_RSRC2:TGID_Z_EN: 1
; COMPUTE_PGM_RSRC2:TIDIG_COMP_CNT: 1
	.section	.text._ZL27rocblas_axpy_kernel_batchedIiLi128ELi8EffPKfPfEviT3_lT4_lT_lT5_lS5_li,"axG",@progbits,_ZL27rocblas_axpy_kernel_batchedIiLi128ELi8EffPKfPfEviT3_lT4_lT_lT5_lS5_li,comdat
	.globl	_ZL27rocblas_axpy_kernel_batchedIiLi128ELi8EffPKfPfEviT3_lT4_lT_lT5_lS5_li ; -- Begin function _ZL27rocblas_axpy_kernel_batchedIiLi128ELi8EffPKfPfEviT3_lT4_lT_lT5_lS5_li
	.p2align	8
	.type	_ZL27rocblas_axpy_kernel_batchedIiLi128ELi8EffPKfPfEviT3_lT4_lT_lT5_lS5_li,@function
_ZL27rocblas_axpy_kernel_batchedIiLi128ELi8EffPKfPfEviT3_lT4_lT_lT5_lS5_li: ; @_ZL27rocblas_axpy_kernel_batchedIiLi128ELi8EffPKfPfEviT3_lT4_lT_lT5_lS5_li
; %bb.0:
	s_load_b64 s[2:3], s[0:1], 0x0
	s_bfe_u32 s4, ttmp6, 0x4000c
	s_and_b32 s5, ttmp6, 15
	s_add_co_i32 s6, s4, 1
	s_getreg_b32 s4, hwreg(HW_REG_IB_STS2, 6, 4)
	s_mul_i32 s6, ttmp9, s6
	v_and_b32_e32 v1, 0x3ff, v0
	s_add_co_i32 s5, s5, s6
	s_cmp_eq_u32 s4, 0
	v_mov_b32_e32 v3, 0
	s_cselect_b32 s5, ttmp9, s5
	s_delay_alu instid0(SALU_CYCLE_1)
	v_lshl_add_u32 v2, s5, 7, v1
	s_wait_kmcnt 0x0
	s_ashr_i32 s7, s2, 31
	s_mov_b32 s6, s2
	s_mov_b32 s2, exec_lo
	v_cmpx_gt_i64_e64 s[6:7], v[2:3]
	s_cbranch_execz .LBB19_12
; %bb.1:
	s_load_b32 s2, s[0:1], 0x50
	s_bfe_u32 s5, ttmp6, 0x40014
	v_lshrrev_b32_e32 v0, 8, v0
	s_lshr_b32 s6, ttmp7, 16
	s_add_co_i32 s5, s5, 1
	s_bfe_u32 s7, ttmp6, 0x40008
	s_mul_i32 s5, s6, s5
	v_and_b32_e32 v0, 0xffc, v0
	s_add_co_i32 s7, s7, s5
	s_cmp_eq_u32 s4, 0
	s_cselect_b32 s4, s6, s7
	s_delay_alu instid0(VALU_DEP_1) | instid1(SALU_CYCLE_1)
	v_lshl_add_u32 v0, s4, 5, v0
	s_wait_kmcnt 0x0
	s_delay_alu instid0(VALU_DEP_1)
	v_cmp_gt_u32_e32 vcc_lo, s2, v0
	s_and_b32 exec_lo, exec_lo, vcc_lo
	s_cbranch_execz .LBB19_12
; %bb.2:
	s_clause 0x1
	s_load_b32 s4, s[0:1], 0x20
	s_load_b96 s[16:18], s[0:1], 0x38
	v_mov_b32_e32 v1, 0
	s_wait_kmcnt 0x0
	s_ashr_i32 s5, s4, 31
	s_ashr_i32 s7, s18, 31
	s_mov_b32 s6, s18
	v_mul_u64_e32 v[4:5], s[4:5], v[2:3]
	v_mul_u64_e32 v[6:7], s[6:7], v[2:3]
	s_clause 0x3
	s_load_b128 s[12:15], s[0:1], 0x10
	s_load_b128 s[4:7], s[0:1], 0x28
	s_load_b32 s18, s[0:1], 0x60
	s_load_b64 s[8:9], s[0:1], 0x48
	s_cmp_neq_f32 s3, 0
	s_wait_xcnt 0x0
	s_mov_b32 s1, 0
	s_cselect_b32 s0, -1, 0
	s_wait_kmcnt 0x0
	s_lshl_b64 s[10:11], s[14:15], 2
	s_lshl_b64 s[14:15], s[16:17], 2
	s_add_nc_u64 s[10:11], s[12:13], s[10:11]
	s_add_nc_u64 s[6:7], s[6:7], s[14:15]
	s_delay_alu instid0(VALU_DEP_2) | instskip(NEXT) | instid1(VALU_DEP_2)
	v_lshl_add_u64 v[2:3], v[4:5], 2, s[10:11]
	v_lshl_add_u64 v[4:5], v[6:7], 2, s[6:7]
	s_lshl_b32 s6, s18, 5
	s_branch .LBB19_4
.LBB19_3:                               ;   in Loop: Header=BB19_4 Depth=1
	s_wait_xcnt 0x0
	s_or_b32 exec_lo, exec_lo, s7
	v_add_nc_u32_e32 v0, s6, v0
	s_delay_alu instid0(VALU_DEP_1) | instskip(SKIP_1) | instid1(SALU_CYCLE_1)
	v_cmp_le_u32_e32 vcc_lo, s2, v0
	s_or_b32 s1, vcc_lo, s1
	s_and_not1_b32 exec_lo, exec_lo, s1
	s_cbranch_execz .LBB19_12
.LBB19_4:                               ; =>This Inner Loop Header: Depth=1
	s_and_not1_b32 vcc_lo, exec_lo, s0
	s_cbranch_vccnz .LBB19_6
; %bb.5:                                ;   in Loop: Header=BB19_4 Depth=1
	v_mul_u64_e32 v[6:7], s[8:9], v[0:1]
	v_mul_u64_e32 v[8:9], s[4:5], v[0:1]
	s_delay_alu instid0(VALU_DEP_2) | instskip(NEXT) | instid1(VALU_DEP_2)
	v_lshl_add_u64 v[6:7], v[6:7], 2, v[4:5]
	v_lshl_add_u64 v[8:9], v[8:9], 2, v[2:3]
	global_load_b32 v10, v[6:7], off
	global_load_b32 v11, v[8:9], off
	s_wait_loadcnt 0x0
	v_fmac_f32_e32 v10, s3, v11
	global_store_b32 v[6:7], v10, off
.LBB19_6:                               ;   in Loop: Header=BB19_4 Depth=1
	s_wait_xcnt 0x0
	v_add_nc_u32_e32 v6, 1, v0
	s_delay_alu instid0(VALU_DEP_1) | instskip(SKIP_1) | instid1(SALU_CYCLE_1)
	v_cmp_gt_u32_e32 vcc_lo, s2, v6
	s_and_b32 s10, s0, vcc_lo
	s_and_saveexec_b32 s7, s10
	s_cbranch_execz .LBB19_8
; %bb.7:                                ;   in Loop: Header=BB19_4 Depth=1
	v_mov_b32_e32 v7, v1
	s_delay_alu instid0(VALU_DEP_1) | instskip(SKIP_1) | instid1(VALU_DEP_2)
	v_mul_u64_e32 v[8:9], s[8:9], v[6:7]
	v_mul_u64_e32 v[6:7], s[4:5], v[6:7]
	v_lshl_add_u64 v[8:9], v[8:9], 2, v[4:5]
	s_delay_alu instid0(VALU_DEP_2)
	v_lshl_add_u64 v[6:7], v[6:7], 2, v[2:3]
	global_load_b32 v10, v[8:9], off
	global_load_b32 v11, v[6:7], off
	s_wait_loadcnt 0x0
	v_fmac_f32_e32 v10, s3, v11
	global_store_b32 v[8:9], v10, off
.LBB19_8:                               ;   in Loop: Header=BB19_4 Depth=1
	s_wait_xcnt 0x0
	s_or_b32 exec_lo, exec_lo, s7
	v_add_nc_u32_e32 v6, 2, v0
	s_delay_alu instid0(VALU_DEP_1) | instskip(SKIP_1) | instid1(SALU_CYCLE_1)
	v_cmp_gt_u32_e32 vcc_lo, s2, v6
	s_and_b32 s10, s0, vcc_lo
	s_and_saveexec_b32 s7, s10
	s_cbranch_execz .LBB19_10
; %bb.9:                                ;   in Loop: Header=BB19_4 Depth=1
	v_mov_b32_e32 v7, v1
	s_delay_alu instid0(VALU_DEP_1) | instskip(SKIP_1) | instid1(VALU_DEP_2)
	v_mul_u64_e32 v[8:9], s[8:9], v[6:7]
	v_mul_u64_e32 v[6:7], s[4:5], v[6:7]
	v_lshl_add_u64 v[8:9], v[8:9], 2, v[4:5]
	s_delay_alu instid0(VALU_DEP_2)
	v_lshl_add_u64 v[6:7], v[6:7], 2, v[2:3]
	global_load_b32 v10, v[8:9], off
	global_load_b32 v11, v[6:7], off
	s_wait_loadcnt 0x0
	v_fmac_f32_e32 v10, s3, v11
	global_store_b32 v[8:9], v10, off
.LBB19_10:                              ;   in Loop: Header=BB19_4 Depth=1
	s_wait_xcnt 0x0
	s_or_b32 exec_lo, exec_lo, s7
	v_add_nc_u32_e32 v6, 3, v0
	s_delay_alu instid0(VALU_DEP_1) | instskip(SKIP_1) | instid1(SALU_CYCLE_1)
	v_cmp_gt_u32_e32 vcc_lo, s2, v6
	s_and_b32 s10, s0, vcc_lo
	s_and_saveexec_b32 s7, s10
	s_cbranch_execz .LBB19_3
; %bb.11:                               ;   in Loop: Header=BB19_4 Depth=1
	v_mov_b32_e32 v7, v1
	s_delay_alu instid0(VALU_DEP_1) | instskip(SKIP_1) | instid1(VALU_DEP_2)
	v_mul_u64_e32 v[8:9], s[8:9], v[6:7]
	v_mul_u64_e32 v[6:7], s[4:5], v[6:7]
	v_lshl_add_u64 v[8:9], v[8:9], 2, v[4:5]
	s_delay_alu instid0(VALU_DEP_2)
	v_lshl_add_u64 v[6:7], v[6:7], 2, v[2:3]
	global_load_b32 v10, v[8:9], off
	global_load_b32 v11, v[6:7], off
	s_wait_loadcnt 0x0
	v_fmac_f32_e32 v10, s3, v11
	global_store_b32 v[8:9], v10, off
	s_branch .LBB19_3
.LBB19_12:
	s_endpgm
	.section	.rodata,"a",@progbits
	.p2align	6, 0x0
	.amdhsa_kernel _ZL27rocblas_axpy_kernel_batchedIiLi128ELi8EffPKfPfEviT3_lT4_lT_lT5_lS5_li
		.amdhsa_group_segment_fixed_size 0
		.amdhsa_private_segment_fixed_size 0
		.amdhsa_kernarg_size 344
		.amdhsa_user_sgpr_count 2
		.amdhsa_user_sgpr_dispatch_ptr 0
		.amdhsa_user_sgpr_queue_ptr 0
		.amdhsa_user_sgpr_kernarg_segment_ptr 1
		.amdhsa_user_sgpr_dispatch_id 0
		.amdhsa_user_sgpr_kernarg_preload_length 0
		.amdhsa_user_sgpr_kernarg_preload_offset 0
		.amdhsa_user_sgpr_private_segment_size 0
		.amdhsa_wavefront_size32 1
		.amdhsa_uses_dynamic_stack 0
		.amdhsa_enable_private_segment 0
		.amdhsa_system_sgpr_workgroup_id_x 1
		.amdhsa_system_sgpr_workgroup_id_y 0
		.amdhsa_system_sgpr_workgroup_id_z 1
		.amdhsa_system_sgpr_workgroup_info 0
		.amdhsa_system_vgpr_workitem_id 1
		.amdhsa_next_free_vgpr 12
		.amdhsa_next_free_sgpr 19
		.amdhsa_named_barrier_count 0
		.amdhsa_reserve_vcc 1
		.amdhsa_float_round_mode_32 0
		.amdhsa_float_round_mode_16_64 0
		.amdhsa_float_denorm_mode_32 3
		.amdhsa_float_denorm_mode_16_64 3
		.amdhsa_fp16_overflow 0
		.amdhsa_memory_ordered 1
		.amdhsa_forward_progress 1
		.amdhsa_inst_pref_size 7
		.amdhsa_round_robin_scheduling 0
		.amdhsa_exception_fp_ieee_invalid_op 0
		.amdhsa_exception_fp_denorm_src 0
		.amdhsa_exception_fp_ieee_div_zero 0
		.amdhsa_exception_fp_ieee_overflow 0
		.amdhsa_exception_fp_ieee_underflow 0
		.amdhsa_exception_fp_ieee_inexact 0
		.amdhsa_exception_int_div_zero 0
	.end_amdhsa_kernel
	.section	.text._ZL27rocblas_axpy_kernel_batchedIiLi128ELi8EffPKfPfEviT3_lT4_lT_lT5_lS5_li,"axG",@progbits,_ZL27rocblas_axpy_kernel_batchedIiLi128ELi8EffPKfPfEviT3_lT4_lT_lT5_lS5_li,comdat
.Lfunc_end19:
	.size	_ZL27rocblas_axpy_kernel_batchedIiLi128ELi8EffPKfPfEviT3_lT4_lT_lT5_lS5_li, .Lfunc_end19-_ZL27rocblas_axpy_kernel_batchedIiLi128ELi8EffPKfPfEviT3_lT4_lT_lT5_lS5_li
                                        ; -- End function
	.set _ZL27rocblas_axpy_kernel_batchedIiLi128ELi8EffPKfPfEviT3_lT4_lT_lT5_lS5_li.num_vgpr, 12
	.set _ZL27rocblas_axpy_kernel_batchedIiLi128ELi8EffPKfPfEviT3_lT4_lT_lT5_lS5_li.num_agpr, 0
	.set _ZL27rocblas_axpy_kernel_batchedIiLi128ELi8EffPKfPfEviT3_lT4_lT_lT5_lS5_li.numbered_sgpr, 19
	.set _ZL27rocblas_axpy_kernel_batchedIiLi128ELi8EffPKfPfEviT3_lT4_lT_lT5_lS5_li.num_named_barrier, 0
	.set _ZL27rocblas_axpy_kernel_batchedIiLi128ELi8EffPKfPfEviT3_lT4_lT_lT5_lS5_li.private_seg_size, 0
	.set _ZL27rocblas_axpy_kernel_batchedIiLi128ELi8EffPKfPfEviT3_lT4_lT_lT5_lS5_li.uses_vcc, 1
	.set _ZL27rocblas_axpy_kernel_batchedIiLi128ELi8EffPKfPfEviT3_lT4_lT_lT5_lS5_li.uses_flat_scratch, 0
	.set _ZL27rocblas_axpy_kernel_batchedIiLi128ELi8EffPKfPfEviT3_lT4_lT_lT5_lS5_li.has_dyn_sized_stack, 0
	.set _ZL27rocblas_axpy_kernel_batchedIiLi128ELi8EffPKfPfEviT3_lT4_lT_lT5_lS5_li.has_recursion, 0
	.set _ZL27rocblas_axpy_kernel_batchedIiLi128ELi8EffPKfPfEviT3_lT4_lT_lT5_lS5_li.has_indirect_call, 0
	.section	.AMDGPU.csdata,"",@progbits
; Kernel info:
; codeLenInByte = 788
; TotalNumSgprs: 21
; NumVgprs: 12
; ScratchSize: 0
; MemoryBound: 0
; FloatMode: 240
; IeeeMode: 1
; LDSByteSize: 0 bytes/workgroup (compile time only)
; SGPRBlocks: 0
; VGPRBlocks: 0
; NumSGPRsForWavesPerEU: 21
; NumVGPRsForWavesPerEU: 12
; NamedBarCnt: 0
; Occupancy: 16
; WaveLimiterHint : 0
; COMPUTE_PGM_RSRC2:SCRATCH_EN: 0
; COMPUTE_PGM_RSRC2:USER_SGPR: 2
; COMPUTE_PGM_RSRC2:TRAP_HANDLER: 0
; COMPUTE_PGM_RSRC2:TGID_X_EN: 1
; COMPUTE_PGM_RSRC2:TGID_Y_EN: 0
; COMPUTE_PGM_RSRC2:TGID_Z_EN: 1
; COMPUTE_PGM_RSRC2:TIDIG_COMP_CNT: 1
	.section	.text._ZL19rocblas_axpy_kernelIiLi256EfPKfS1_PfEviT2_lT3_lT_lT4_lS5_li,"axG",@progbits,_ZL19rocblas_axpy_kernelIiLi256EfPKfS1_PfEviT2_lT3_lT_lT4_lS5_li,comdat
	.globl	_ZL19rocblas_axpy_kernelIiLi256EfPKfS1_PfEviT2_lT3_lT_lT4_lS5_li ; -- Begin function _ZL19rocblas_axpy_kernelIiLi256EfPKfS1_PfEviT2_lT3_lT_lT4_lS5_li
	.p2align	8
	.type	_ZL19rocblas_axpy_kernelIiLi256EfPKfS1_PfEviT2_lT3_lT_lT4_lS5_li,@function
_ZL19rocblas_axpy_kernelIiLi256EfPKfS1_PfEviT2_lT3_lT_lT4_lS5_li: ; @_ZL19rocblas_axpy_kernelIiLi256EfPKfS1_PfEviT2_lT3_lT_lT4_lS5_li
; %bb.0:
	s_load_b32 s18, s[0:1], 0x58
	s_bfe_u32 s2, ttmp6, 0x40014
	s_lshr_b32 s3, ttmp7, 16
	s_add_co_i32 s2, s2, 1
	s_bfe_u32 s4, ttmp6, 0x40008
	s_mul_i32 s2, s3, s2
	s_getreg_b32 s12, hwreg(HW_REG_IB_STS2, 6, 4)
	s_add_co_i32 s4, s4, s2
	s_cmp_eq_u32 s12, 0
	s_cselect_b32 s2, s3, s4
	s_mov_b32 s3, 0
	s_wait_kmcnt 0x0
	s_cmp_ge_u32 s2, s18
	s_cbranch_scc1 .LBB20_5
; %bb.1:
	s_clause 0x3
	s_load_b32 s24, s[0:1], 0x0
	s_load_b32 s14, s[0:1], 0x28
	s_load_b96 s[20:22], s[0:1], 0x40
	s_load_b256 s[4:11], s[0:1], 0x8
	s_bfe_u32 s13, ttmp6, 0x4000c
	s_and_b32 s15, ttmp6, 15
	s_add_co_i32 s13, s13, 1
	v_mov_b32_e32 v1, 0
	s_mul_i32 s13, ttmp9, s13
	s_load_b64 s[16:17], s[0:1], 0x50
	s_add_co_i32 s19, s15, s13
	s_wait_kmcnt 0x0
	s_ashr_i32 s25, s24, 31
	s_ashr_i32 s15, s14, 31
	;; [unrolled: 1-line block ×3, first 2 shown]
	s_lshl_b64 s[20:21], s[20:21], 2
	s_lshl_b64 s[10:11], s[10:11], 2
	s_cmp_eq_u32 s12, 0
	s_add_nc_u64 s[8:9], s[8:9], s[10:11]
	s_cselect_b32 s12, ttmp9, s19
	s_delay_alu instid0(SALU_CYCLE_1) | instskip(SKIP_1) | instid1(VALU_DEP_1)
	v_lshl_or_b32 v0, s12, 8, v0
	s_mov_b32 s12, s22
	v_mul_u64_e32 v[2:3], s[14:15], v[0:1]
	v_mul_u64_e32 v[4:5], s[12:13], v[0:1]
	s_load_b128 s[12:15], s[0:1], 0x30
	v_cmp_gt_i64_e32 vcc_lo, s[24:25], v[0:1]
	s_wait_kmcnt 0x0
	s_add_nc_u64 s[0:1], s[14:15], s[20:21]
	s_delay_alu instid0(VALU_DEP_3) | instskip(NEXT) | instid1(VALU_DEP_3)
	v_lshl_add_u64 v[0:1], v[2:3], 2, s[8:9]
	v_lshl_add_u64 v[2:3], v[4:5], 2, s[0:1]
	s_branch .LBB20_3
.LBB20_2:                               ;   in Loop: Header=BB20_3 Depth=1
	s_wait_xcnt 0x0
	s_or_b32 exec_lo, exec_lo, s1
	s_add_co_i32 s2, s2, 0x10000
	s_delay_alu instid0(SALU_CYCLE_1)
	s_cmp_lt_u32 s2, s18
	s_cbranch_scc0 .LBB20_5
.LBB20_3:                               ; =>This Inner Loop Header: Depth=1
	s_mul_u64 s[0:1], s[6:7], s[2:3]
	s_delay_alu instid0(SALU_CYCLE_1) | instskip(NEXT) | instid1(SALU_CYCLE_1)
	s_lshl_b64 s[0:1], s[0:1], 2
	s_add_nc_u64 s[0:1], s[4:5], s[0:1]
	s_load_b32 s0, s[0:1], 0x0
	s_wait_kmcnt 0x0
	s_cmp_neq_f32 s0, 0
	s_wait_xcnt 0x0
	s_cselect_b32 s1, -1, 0
	s_delay_alu instid0(SALU_CYCLE_1) | instskip(NEXT) | instid1(SALU_CYCLE_1)
	s_and_b32 s8, vcc_lo, s1
	s_and_saveexec_b32 s1, s8
	s_cbranch_execz .LBB20_2
; %bb.4:                                ;   in Loop: Header=BB20_3 Depth=1
	s_mul_u64 s[8:9], s[16:17], s[2:3]
	s_mul_u64 s[10:11], s[12:13], s[2:3]
	v_lshl_add_u64 v[4:5], s[8:9], 2, v[2:3]
	v_lshl_add_u64 v[6:7], s[10:11], 2, v[0:1]
	global_load_b32 v8, v[4:5], off
	global_load_b32 v9, v[6:7], off
	s_wait_loadcnt 0x0
	v_fmac_f32_e32 v8, s0, v9
	global_store_b32 v[4:5], v8, off
	s_branch .LBB20_2
.LBB20_5:
	s_endpgm
	.section	.rodata,"a",@progbits
	.p2align	6, 0x0
	.amdhsa_kernel _ZL19rocblas_axpy_kernelIiLi256EfPKfS1_PfEviT2_lT3_lT_lT4_lS5_li
		.amdhsa_group_segment_fixed_size 0
		.amdhsa_private_segment_fixed_size 0
		.amdhsa_kernarg_size 92
		.amdhsa_user_sgpr_count 2
		.amdhsa_user_sgpr_dispatch_ptr 0
		.amdhsa_user_sgpr_queue_ptr 0
		.amdhsa_user_sgpr_kernarg_segment_ptr 1
		.amdhsa_user_sgpr_dispatch_id 0
		.amdhsa_user_sgpr_kernarg_preload_length 0
		.amdhsa_user_sgpr_kernarg_preload_offset 0
		.amdhsa_user_sgpr_private_segment_size 0
		.amdhsa_wavefront_size32 1
		.amdhsa_uses_dynamic_stack 0
		.amdhsa_enable_private_segment 0
		.amdhsa_system_sgpr_workgroup_id_x 1
		.amdhsa_system_sgpr_workgroup_id_y 0
		.amdhsa_system_sgpr_workgroup_id_z 1
		.amdhsa_system_sgpr_workgroup_info 0
		.amdhsa_system_vgpr_workitem_id 0
		.amdhsa_next_free_vgpr 10
		.amdhsa_next_free_sgpr 26
		.amdhsa_named_barrier_count 0
		.amdhsa_reserve_vcc 1
		.amdhsa_float_round_mode_32 0
		.amdhsa_float_round_mode_16_64 0
		.amdhsa_float_denorm_mode_32 3
		.amdhsa_float_denorm_mode_16_64 3
		.amdhsa_fp16_overflow 0
		.amdhsa_memory_ordered 1
		.amdhsa_forward_progress 1
		.amdhsa_inst_pref_size 4
		.amdhsa_round_robin_scheduling 0
		.amdhsa_exception_fp_ieee_invalid_op 0
		.amdhsa_exception_fp_denorm_src 0
		.amdhsa_exception_fp_ieee_div_zero 0
		.amdhsa_exception_fp_ieee_overflow 0
		.amdhsa_exception_fp_ieee_underflow 0
		.amdhsa_exception_fp_ieee_inexact 0
		.amdhsa_exception_int_div_zero 0
	.end_amdhsa_kernel
	.section	.text._ZL19rocblas_axpy_kernelIiLi256EfPKfS1_PfEviT2_lT3_lT_lT4_lS5_li,"axG",@progbits,_ZL19rocblas_axpy_kernelIiLi256EfPKfS1_PfEviT2_lT3_lT_lT4_lS5_li,comdat
.Lfunc_end20:
	.size	_ZL19rocblas_axpy_kernelIiLi256EfPKfS1_PfEviT2_lT3_lT_lT4_lS5_li, .Lfunc_end20-_ZL19rocblas_axpy_kernelIiLi256EfPKfS1_PfEviT2_lT3_lT_lT4_lS5_li
                                        ; -- End function
	.set _ZL19rocblas_axpy_kernelIiLi256EfPKfS1_PfEviT2_lT3_lT_lT4_lS5_li.num_vgpr, 10
	.set _ZL19rocblas_axpy_kernelIiLi256EfPKfS1_PfEviT2_lT3_lT_lT4_lS5_li.num_agpr, 0
	.set _ZL19rocblas_axpy_kernelIiLi256EfPKfS1_PfEviT2_lT3_lT_lT4_lS5_li.numbered_sgpr, 26
	.set _ZL19rocblas_axpy_kernelIiLi256EfPKfS1_PfEviT2_lT3_lT_lT4_lS5_li.num_named_barrier, 0
	.set _ZL19rocblas_axpy_kernelIiLi256EfPKfS1_PfEviT2_lT3_lT_lT4_lS5_li.private_seg_size, 0
	.set _ZL19rocblas_axpy_kernelIiLi256EfPKfS1_PfEviT2_lT3_lT_lT4_lS5_li.uses_vcc, 1
	.set _ZL19rocblas_axpy_kernelIiLi256EfPKfS1_PfEviT2_lT3_lT_lT4_lS5_li.uses_flat_scratch, 0
	.set _ZL19rocblas_axpy_kernelIiLi256EfPKfS1_PfEviT2_lT3_lT_lT4_lS5_li.has_dyn_sized_stack, 0
	.set _ZL19rocblas_axpy_kernelIiLi256EfPKfS1_PfEviT2_lT3_lT_lT4_lS5_li.has_recursion, 0
	.set _ZL19rocblas_axpy_kernelIiLi256EfPKfS1_PfEviT2_lT3_lT_lT4_lS5_li.has_indirect_call, 0
	.section	.AMDGPU.csdata,"",@progbits
; Kernel info:
; codeLenInByte = 404
; TotalNumSgprs: 28
; NumVgprs: 10
; ScratchSize: 0
; MemoryBound: 0
; FloatMode: 240
; IeeeMode: 1
; LDSByteSize: 0 bytes/workgroup (compile time only)
; SGPRBlocks: 0
; VGPRBlocks: 0
; NumSGPRsForWavesPerEU: 28
; NumVGPRsForWavesPerEU: 10
; NamedBarCnt: 0
; Occupancy: 16
; WaveLimiterHint : 0
; COMPUTE_PGM_RSRC2:SCRATCH_EN: 0
; COMPUTE_PGM_RSRC2:USER_SGPR: 2
; COMPUTE_PGM_RSRC2:TRAP_HANDLER: 0
; COMPUTE_PGM_RSRC2:TGID_X_EN: 1
; COMPUTE_PGM_RSRC2:TGID_Y_EN: 0
; COMPUTE_PGM_RSRC2:TGID_Z_EN: 1
; COMPUTE_PGM_RSRC2:TIDIG_COMP_CNT: 0
	.section	.text._ZL19rocblas_axpy_kernelIiLi256EffPKfPfEviT2_lT3_lT_lT4_lS5_li,"axG",@progbits,_ZL19rocblas_axpy_kernelIiLi256EffPKfPfEviT2_lT3_lT_lT4_lS5_li,comdat
	.globl	_ZL19rocblas_axpy_kernelIiLi256EffPKfPfEviT2_lT3_lT_lT4_lS5_li ; -- Begin function _ZL19rocblas_axpy_kernelIiLi256EffPKfPfEviT2_lT3_lT_lT4_lS5_li
	.p2align	8
	.type	_ZL19rocblas_axpy_kernelIiLi256EffPKfPfEviT2_lT3_lT_lT4_lS5_li,@function
_ZL19rocblas_axpy_kernelIiLi256EffPKfPfEviT2_lT3_lT_lT4_lS5_li: ; @_ZL19rocblas_axpy_kernelIiLi256EffPKfPfEviT2_lT3_lT_lT4_lS5_li
; %bb.0:
	s_load_b32 s10, s[0:1], 0x50
	s_bfe_u32 s2, ttmp6, 0x40014
	s_lshr_b32 s3, ttmp7, 16
	s_add_co_i32 s2, s2, 1
	s_bfe_u32 s5, ttmp6, 0x40008
	s_mul_i32 s4, s3, s2
	s_getreg_b32 s2, hwreg(HW_REG_IB_STS2, 6, 4)
	s_add_co_i32 s5, s5, s4
	s_cmp_eq_u32 s2, 0
	s_cselect_b32 s4, s3, s5
	s_mov_b32 s5, 0
	s_wait_kmcnt 0x0
	s_cmp_ge_u32 s4, s10
	s_cbranch_scc1 .LBB21_5
; %bb.1:
	s_clause 0x2
	s_load_b32 s20, s[0:1], 0x20
	s_load_b96 s[16:18], s[0:1], 0x38
	s_load_b128 s[12:15], s[0:1], 0x10
	s_bfe_u32 s3, ttmp6, 0x4000c
	s_and_b32 s11, ttmp6, 15
	s_add_co_i32 s3, s3, 1
	v_mov_b32_e32 v1, 0
	s_mul_i32 s3, ttmp9, s3
	s_clause 0x1
	s_load_b64 s[6:7], s[0:1], 0x0
	s_load_b64 s[8:9], s[0:1], 0x48
	s_add_co_i32 s11, s11, s3
	s_wait_kmcnt 0x0
	s_ashr_i32 s21, s20, 31
	s_ashr_i32 s3, s18, 31
	s_lshl_b64 s[16:17], s[16:17], 2
	s_lshl_b64 s[14:15], s[14:15], 2
	s_cmp_eq_u32 s2, 0
	s_add_nc_u64 s[12:13], s[12:13], s[14:15]
	s_cselect_b32 s2, ttmp9, s11
	s_delay_alu instid0(SALU_CYCLE_1) | instskip(SKIP_3) | instid1(VALU_DEP_1)
	v_lshl_or_b32 v0, s2, 8, v0
	s_mov_b32 s2, s18
	s_cmp_neq_f32 s7, 0
	s_mov_b32 s18, s6
	v_mul_u64_e32 v[2:3], s[20:21], v[0:1]
	v_mul_u64_e32 v[4:5], s[2:3], v[0:1]
	s_load_b128 s[0:3], s[0:1], 0x28
	s_cselect_b32 s11, -1, 0
	s_ashr_i32 s19, s6, 31
	s_delay_alu instid0(SALU_CYCLE_1) | instskip(SKIP_2) | instid1(VALU_DEP_3)
	v_cmp_gt_i64_e32 vcc_lo, s[18:19], v[0:1]
	s_wait_kmcnt 0x0
	s_add_nc_u64 s[2:3], s[2:3], s[16:17]
	v_lshl_add_u64 v[0:1], v[2:3], 2, s[12:13]
	s_delay_alu instid0(VALU_DEP_3)
	v_lshl_add_u64 v[2:3], v[4:5], 2, s[2:3]
	s_and_b32 s2, s11, vcc_lo
	s_branch .LBB21_3
.LBB21_2:                               ;   in Loop: Header=BB21_3 Depth=1
	s_wait_xcnt 0x0
	s_or_b32 exec_lo, exec_lo, s3
	s_add_co_i32 s4, s4, 0x10000
	s_delay_alu instid0(SALU_CYCLE_1)
	s_cmp_lt_u32 s4, s10
	s_cbranch_scc0 .LBB21_5
.LBB21_3:                               ; =>This Inner Loop Header: Depth=1
	s_and_saveexec_b32 s3, s2
	s_cbranch_execz .LBB21_2
; %bb.4:                                ;   in Loop: Header=BB21_3 Depth=1
	s_mul_u64 s[12:13], s[8:9], s[4:5]
	s_mul_u64 s[14:15], s[0:1], s[4:5]
	v_lshl_add_u64 v[4:5], s[12:13], 2, v[2:3]
	v_lshl_add_u64 v[6:7], s[14:15], 2, v[0:1]
	global_load_b32 v8, v[4:5], off
	global_load_b32 v9, v[6:7], off
	s_wait_loadcnt 0x0
	v_fmac_f32_e32 v8, s7, v9
	global_store_b32 v[4:5], v8, off
	s_branch .LBB21_2
.LBB21_5:
	s_endpgm
	.section	.rodata,"a",@progbits
	.p2align	6, 0x0
	.amdhsa_kernel _ZL19rocblas_axpy_kernelIiLi256EffPKfPfEviT2_lT3_lT_lT4_lS5_li
		.amdhsa_group_segment_fixed_size 0
		.amdhsa_private_segment_fixed_size 0
		.amdhsa_kernarg_size 84
		.amdhsa_user_sgpr_count 2
		.amdhsa_user_sgpr_dispatch_ptr 0
		.amdhsa_user_sgpr_queue_ptr 0
		.amdhsa_user_sgpr_kernarg_segment_ptr 1
		.amdhsa_user_sgpr_dispatch_id 0
		.amdhsa_user_sgpr_kernarg_preload_length 0
		.amdhsa_user_sgpr_kernarg_preload_offset 0
		.amdhsa_user_sgpr_private_segment_size 0
		.amdhsa_wavefront_size32 1
		.amdhsa_uses_dynamic_stack 0
		.amdhsa_enable_private_segment 0
		.amdhsa_system_sgpr_workgroup_id_x 1
		.amdhsa_system_sgpr_workgroup_id_y 0
		.amdhsa_system_sgpr_workgroup_id_z 1
		.amdhsa_system_sgpr_workgroup_info 0
		.amdhsa_system_vgpr_workitem_id 0
		.amdhsa_next_free_vgpr 10
		.amdhsa_next_free_sgpr 22
		.amdhsa_named_barrier_count 0
		.amdhsa_reserve_vcc 1
		.amdhsa_float_round_mode_32 0
		.amdhsa_float_round_mode_16_64 0
		.amdhsa_float_denorm_mode_32 3
		.amdhsa_float_denorm_mode_16_64 3
		.amdhsa_fp16_overflow 0
		.amdhsa_memory_ordered 1
		.amdhsa_forward_progress 1
		.amdhsa_inst_pref_size 3
		.amdhsa_round_robin_scheduling 0
		.amdhsa_exception_fp_ieee_invalid_op 0
		.amdhsa_exception_fp_denorm_src 0
		.amdhsa_exception_fp_ieee_div_zero 0
		.amdhsa_exception_fp_ieee_overflow 0
		.amdhsa_exception_fp_ieee_underflow 0
		.amdhsa_exception_fp_ieee_inexact 0
		.amdhsa_exception_int_div_zero 0
	.end_amdhsa_kernel
	.section	.text._ZL19rocblas_axpy_kernelIiLi256EffPKfPfEviT2_lT3_lT_lT4_lS5_li,"axG",@progbits,_ZL19rocblas_axpy_kernelIiLi256EffPKfPfEviT2_lT3_lT_lT4_lS5_li,comdat
.Lfunc_end21:
	.size	_ZL19rocblas_axpy_kernelIiLi256EffPKfPfEviT2_lT3_lT_lT4_lS5_li, .Lfunc_end21-_ZL19rocblas_axpy_kernelIiLi256EffPKfPfEviT2_lT3_lT_lT4_lS5_li
                                        ; -- End function
	.set _ZL19rocblas_axpy_kernelIiLi256EffPKfPfEviT2_lT3_lT_lT4_lS5_li.num_vgpr, 10
	.set _ZL19rocblas_axpy_kernelIiLi256EffPKfPfEviT2_lT3_lT_lT4_lS5_li.num_agpr, 0
	.set _ZL19rocblas_axpy_kernelIiLi256EffPKfPfEviT2_lT3_lT_lT4_lS5_li.numbered_sgpr, 22
	.set _ZL19rocblas_axpy_kernelIiLi256EffPKfPfEviT2_lT3_lT_lT4_lS5_li.num_named_barrier, 0
	.set _ZL19rocblas_axpy_kernelIiLi256EffPKfPfEviT2_lT3_lT_lT4_lS5_li.private_seg_size, 0
	.set _ZL19rocblas_axpy_kernelIiLi256EffPKfPfEviT2_lT3_lT_lT4_lS5_li.uses_vcc, 1
	.set _ZL19rocblas_axpy_kernelIiLi256EffPKfPfEviT2_lT3_lT_lT4_lS5_li.uses_flat_scratch, 0
	.set _ZL19rocblas_axpy_kernelIiLi256EffPKfPfEviT2_lT3_lT_lT4_lS5_li.has_dyn_sized_stack, 0
	.set _ZL19rocblas_axpy_kernelIiLi256EffPKfPfEviT2_lT3_lT_lT4_lS5_li.has_recursion, 0
	.set _ZL19rocblas_axpy_kernelIiLi256EffPKfPfEviT2_lT3_lT_lT4_lS5_li.has_indirect_call, 0
	.section	.AMDGPU.csdata,"",@progbits
; Kernel info:
; codeLenInByte = 380
; TotalNumSgprs: 24
; NumVgprs: 10
; ScratchSize: 0
; MemoryBound: 0
; FloatMode: 240
; IeeeMode: 1
; LDSByteSize: 0 bytes/workgroup (compile time only)
; SGPRBlocks: 0
; VGPRBlocks: 0
; NumSGPRsForWavesPerEU: 24
; NumVGPRsForWavesPerEU: 10
; NamedBarCnt: 0
; Occupancy: 16
; WaveLimiterHint : 0
; COMPUTE_PGM_RSRC2:SCRATCH_EN: 0
; COMPUTE_PGM_RSRC2:USER_SGPR: 2
; COMPUTE_PGM_RSRC2:TRAP_HANDLER: 0
; COMPUTE_PGM_RSRC2:TGID_X_EN: 1
; COMPUTE_PGM_RSRC2:TGID_Y_EN: 0
; COMPUTE_PGM_RSRC2:TGID_Z_EN: 1
; COMPUTE_PGM_RSRC2:TIDIG_COMP_CNT: 0
	.section	.text._ZL19rocblas_axpy_kernelIlLi256EfPKfS1_PfEviT2_lT3_lT_lT4_lS5_li,"axG",@progbits,_ZL19rocblas_axpy_kernelIlLi256EfPKfS1_PfEviT2_lT3_lT_lT4_lS5_li,comdat
	.globl	_ZL19rocblas_axpy_kernelIlLi256EfPKfS1_PfEviT2_lT3_lT_lT4_lS5_li ; -- Begin function _ZL19rocblas_axpy_kernelIlLi256EfPKfS1_PfEviT2_lT3_lT_lT4_lS5_li
	.p2align	8
	.type	_ZL19rocblas_axpy_kernelIlLi256EfPKfS1_PfEviT2_lT3_lT_lT4_lS5_li,@function
_ZL19rocblas_axpy_kernelIlLi256EfPKfS1_PfEviT2_lT3_lT_lT4_lS5_li: ; @_ZL19rocblas_axpy_kernelIlLi256EfPKfS1_PfEviT2_lT3_lT_lT4_lS5_li
; %bb.0:
	s_load_b32 s16, s[0:1], 0x58
	s_bfe_u32 s2, ttmp6, 0x40014
	s_lshr_b32 s3, ttmp7, 16
	s_add_co_i32 s2, s2, 1
	s_bfe_u32 s4, ttmp6, 0x40008
	s_mul_i32 s2, s3, s2
	s_getreg_b32 s17, hwreg(HW_REG_IB_STS2, 6, 4)
	s_add_co_i32 s4, s4, s2
	s_cmp_eq_u32 s17, 0
	s_cselect_b32 s2, s3, s4
	s_mov_b32 s3, 0
	s_wait_kmcnt 0x0
	s_cmp_ge_u32 s2, s16
	s_cbranch_scc1 .LBB22_5
; %bb.1:
	s_clause 0x2
	s_load_b32 s18, s[0:1], 0x0
	s_load_b256 s[4:11], s[0:1], 0x30
	s_load_b128 s[20:23], s[0:1], 0x20
	s_bfe_u32 s12, ttmp6, 0x4000c
	s_and_b32 s19, ttmp6, 15
	s_add_co_i32 s12, s12, 1
	v_mov_b32_e32 v1, 0
	s_mul_i32 s24, ttmp9, s12
	s_load_b128 s[12:15], s[0:1], 0x8
	s_add_co_i32 s26, s19, s24
	s_wait_kmcnt 0x0
	s_ashr_i32 s19, s18, 31
	s_lshl_b64 s[24:25], s[8:9], 2
	s_lshl_b64 s[20:21], s[20:21], 2
	s_cmp_eq_u32 s17, 0
	s_cselect_b32 s8, ttmp9, s26
	s_delay_alu instid0(SALU_CYCLE_1) | instskip(NEXT) | instid1(VALU_DEP_1)
	v_lshl_or_b32 v0, s8, 8, v0
	v_mul_u64_e32 v[2:3], s[22:23], v[0:1]
	v_mul_u64_e32 v[4:5], s[10:11], v[0:1]
	s_clause 0x1
	s_load_b64 s[10:11], s[0:1], 0x18
	s_load_b64 s[8:9], s[0:1], 0x50
	s_wait_xcnt 0x0
	s_add_nc_u64 s[0:1], s[6:7], s[24:25]
	v_cmp_gt_i64_e32 vcc_lo, s[18:19], v[0:1]
	s_wait_kmcnt 0x0
	s_add_nc_u64 s[6:7], s[10:11], s[20:21]
	s_delay_alu instid0(VALU_DEP_3) | instid1(SALU_CYCLE_1)
	v_lshl_add_u64 v[0:1], v[2:3], 2, s[6:7]
	s_delay_alu instid0(VALU_DEP_3)
	v_lshl_add_u64 v[2:3], v[4:5], 2, s[0:1]
	s_branch .LBB22_3
.LBB22_2:                               ;   in Loop: Header=BB22_3 Depth=1
	s_wait_xcnt 0x0
	s_or_b32 exec_lo, exec_lo, s1
	s_add_co_i32 s2, s2, 0x10000
	s_delay_alu instid0(SALU_CYCLE_1)
	s_cmp_lt_u32 s2, s16
	s_cbranch_scc0 .LBB22_5
.LBB22_3:                               ; =>This Inner Loop Header: Depth=1
	s_mul_u64 s[0:1], s[14:15], s[2:3]
	s_delay_alu instid0(SALU_CYCLE_1) | instskip(NEXT) | instid1(SALU_CYCLE_1)
	s_lshl_b64 s[0:1], s[0:1], 2
	s_add_nc_u64 s[0:1], s[12:13], s[0:1]
	s_load_b32 s0, s[0:1], 0x0
	s_wait_kmcnt 0x0
	s_cmp_neq_f32 s0, 0
	s_wait_xcnt 0x0
	s_cselect_b32 s1, -1, 0
	s_delay_alu instid0(SALU_CYCLE_1) | instskip(NEXT) | instid1(SALU_CYCLE_1)
	s_and_b32 s6, vcc_lo, s1
	s_and_saveexec_b32 s1, s6
	s_cbranch_execz .LBB22_2
; %bb.4:                                ;   in Loop: Header=BB22_3 Depth=1
	s_mul_u64 s[6:7], s[8:9], s[2:3]
	s_mul_u64 s[10:11], s[4:5], s[2:3]
	v_lshl_add_u64 v[4:5], s[6:7], 2, v[2:3]
	v_lshl_add_u64 v[6:7], s[10:11], 2, v[0:1]
	global_load_b32 v8, v[4:5], off
	global_load_b32 v9, v[6:7], off
	s_wait_loadcnt 0x0
	v_fmac_f32_e32 v8, s0, v9
	global_store_b32 v[4:5], v8, off
	s_branch .LBB22_2
.LBB22_5:
	s_endpgm
	.section	.rodata,"a",@progbits
	.p2align	6, 0x0
	.amdhsa_kernel _ZL19rocblas_axpy_kernelIlLi256EfPKfS1_PfEviT2_lT3_lT_lT4_lS5_li
		.amdhsa_group_segment_fixed_size 0
		.amdhsa_private_segment_fixed_size 0
		.amdhsa_kernarg_size 92
		.amdhsa_user_sgpr_count 2
		.amdhsa_user_sgpr_dispatch_ptr 0
		.amdhsa_user_sgpr_queue_ptr 0
		.amdhsa_user_sgpr_kernarg_segment_ptr 1
		.amdhsa_user_sgpr_dispatch_id 0
		.amdhsa_user_sgpr_kernarg_preload_length 0
		.amdhsa_user_sgpr_kernarg_preload_offset 0
		.amdhsa_user_sgpr_private_segment_size 0
		.amdhsa_wavefront_size32 1
		.amdhsa_uses_dynamic_stack 0
		.amdhsa_enable_private_segment 0
		.amdhsa_system_sgpr_workgroup_id_x 1
		.amdhsa_system_sgpr_workgroup_id_y 0
		.amdhsa_system_sgpr_workgroup_id_z 1
		.amdhsa_system_sgpr_workgroup_info 0
		.amdhsa_system_vgpr_workitem_id 0
		.amdhsa_next_free_vgpr 10
		.amdhsa_next_free_sgpr 27
		.amdhsa_named_barrier_count 0
		.amdhsa_reserve_vcc 1
		.amdhsa_float_round_mode_32 0
		.amdhsa_float_round_mode_16_64 0
		.amdhsa_float_denorm_mode_32 3
		.amdhsa_float_denorm_mode_16_64 3
		.amdhsa_fp16_overflow 0
		.amdhsa_memory_ordered 1
		.amdhsa_forward_progress 1
		.amdhsa_inst_pref_size 4
		.amdhsa_round_robin_scheduling 0
		.amdhsa_exception_fp_ieee_invalid_op 0
		.amdhsa_exception_fp_denorm_src 0
		.amdhsa_exception_fp_ieee_div_zero 0
		.amdhsa_exception_fp_ieee_overflow 0
		.amdhsa_exception_fp_ieee_underflow 0
		.amdhsa_exception_fp_ieee_inexact 0
		.amdhsa_exception_int_div_zero 0
	.end_amdhsa_kernel
	.section	.text._ZL19rocblas_axpy_kernelIlLi256EfPKfS1_PfEviT2_lT3_lT_lT4_lS5_li,"axG",@progbits,_ZL19rocblas_axpy_kernelIlLi256EfPKfS1_PfEviT2_lT3_lT_lT4_lS5_li,comdat
.Lfunc_end22:
	.size	_ZL19rocblas_axpy_kernelIlLi256EfPKfS1_PfEviT2_lT3_lT_lT4_lS5_li, .Lfunc_end22-_ZL19rocblas_axpy_kernelIlLi256EfPKfS1_PfEviT2_lT3_lT_lT4_lS5_li
                                        ; -- End function
	.set _ZL19rocblas_axpy_kernelIlLi256EfPKfS1_PfEviT2_lT3_lT_lT4_lS5_li.num_vgpr, 10
	.set _ZL19rocblas_axpy_kernelIlLi256EfPKfS1_PfEviT2_lT3_lT_lT4_lS5_li.num_agpr, 0
	.set _ZL19rocblas_axpy_kernelIlLi256EfPKfS1_PfEviT2_lT3_lT_lT4_lS5_li.numbered_sgpr, 27
	.set _ZL19rocblas_axpy_kernelIlLi256EfPKfS1_PfEviT2_lT3_lT_lT4_lS5_li.num_named_barrier, 0
	.set _ZL19rocblas_axpy_kernelIlLi256EfPKfS1_PfEviT2_lT3_lT_lT4_lS5_li.private_seg_size, 0
	.set _ZL19rocblas_axpy_kernelIlLi256EfPKfS1_PfEviT2_lT3_lT_lT4_lS5_li.uses_vcc, 1
	.set _ZL19rocblas_axpy_kernelIlLi256EfPKfS1_PfEviT2_lT3_lT_lT4_lS5_li.uses_flat_scratch, 0
	.set _ZL19rocblas_axpy_kernelIlLi256EfPKfS1_PfEviT2_lT3_lT_lT4_lS5_li.has_dyn_sized_stack, 0
	.set _ZL19rocblas_axpy_kernelIlLi256EfPKfS1_PfEviT2_lT3_lT_lT4_lS5_li.has_recursion, 0
	.set _ZL19rocblas_axpy_kernelIlLi256EfPKfS1_PfEviT2_lT3_lT_lT4_lS5_li.has_indirect_call, 0
	.section	.AMDGPU.csdata,"",@progbits
; Kernel info:
; codeLenInByte = 404
; TotalNumSgprs: 29
; NumVgprs: 10
; ScratchSize: 0
; MemoryBound: 0
; FloatMode: 240
; IeeeMode: 1
; LDSByteSize: 0 bytes/workgroup (compile time only)
; SGPRBlocks: 0
; VGPRBlocks: 0
; NumSGPRsForWavesPerEU: 29
; NumVGPRsForWavesPerEU: 10
; NamedBarCnt: 0
; Occupancy: 16
; WaveLimiterHint : 0
; COMPUTE_PGM_RSRC2:SCRATCH_EN: 0
; COMPUTE_PGM_RSRC2:USER_SGPR: 2
; COMPUTE_PGM_RSRC2:TRAP_HANDLER: 0
; COMPUTE_PGM_RSRC2:TGID_X_EN: 1
; COMPUTE_PGM_RSRC2:TGID_Y_EN: 0
; COMPUTE_PGM_RSRC2:TGID_Z_EN: 1
; COMPUTE_PGM_RSRC2:TIDIG_COMP_CNT: 0
	.section	.text._ZL19rocblas_axpy_kernelIlLi256EffPKfPfEviT2_lT3_lT_lT4_lS5_li,"axG",@progbits,_ZL19rocblas_axpy_kernelIlLi256EffPKfPfEviT2_lT3_lT_lT4_lS5_li,comdat
	.globl	_ZL19rocblas_axpy_kernelIlLi256EffPKfPfEviT2_lT3_lT_lT4_lS5_li ; -- Begin function _ZL19rocblas_axpy_kernelIlLi256EffPKfPfEviT2_lT3_lT_lT4_lS5_li
	.p2align	8
	.type	_ZL19rocblas_axpy_kernelIlLi256EffPKfPfEviT2_lT3_lT_lT4_lS5_li,@function
_ZL19rocblas_axpy_kernelIlLi256EffPKfPfEviT2_lT3_lT_lT4_lS5_li: ; @_ZL19rocblas_axpy_kernelIlLi256EffPKfPfEviT2_lT3_lT_lT4_lS5_li
; %bb.0:
	s_load_b32 s12, s[0:1], 0x50
	s_bfe_u32 s2, ttmp6, 0x40014
	s_lshr_b32 s3, ttmp7, 16
	s_add_co_i32 s2, s2, 1
	s_bfe_u32 s4, ttmp6, 0x40008
	s_mul_i32 s2, s3, s2
	s_getreg_b32 s13, hwreg(HW_REG_IB_STS2, 6, 4)
	s_add_co_i32 s4, s4, s2
	s_cmp_eq_u32 s13, 0
	s_cselect_b32 s2, s3, s4
	s_mov_b32 s3, 0
	s_wait_kmcnt 0x0
	s_cmp_ge_u32 s2, s12
	s_cbranch_scc1 .LBB23_5
; %bb.1:
	s_clause 0x1
	s_load_b256 s[4:11], s[0:1], 0x28
	s_load_b128 s[16:19], s[0:1], 0x18
	s_bfe_u32 s14, ttmp6, 0x4000c
	s_and_b32 s15, ttmp6, 15
	s_add_co_i32 s14, s14, 1
	v_mov_b32_e32 v1, 0
	s_mul_i32 s14, ttmp9, s14
	s_delay_alu instid0(SALU_CYCLE_1)
	s_add_co_i32 s20, s15, s14
	s_wait_kmcnt 0x0
	s_lshl_b64 s[14:15], s[8:9], 2
	s_lshl_b64 s[16:17], s[16:17], 2
	s_cmp_eq_u32 s13, 0
	s_add_nc_u64 s[6:7], s[6:7], s[14:15]
	s_cselect_b32 s8, ttmp9, s20
	s_delay_alu instid0(SALU_CYCLE_1) | instskip(NEXT) | instid1(VALU_DEP_1)
	v_lshl_or_b32 v0, s8, 8, v0
	v_mul_u64_e32 v[2:3], s[18:19], v[0:1]
	v_mul_u64_e32 v[4:5], s[10:11], v[0:1]
	s_clause 0x2
	s_load_b64 s[8:9], s[0:1], 0x0
	s_load_b64 s[18:19], s[0:1], 0x10
	;; [unrolled: 1-line block ×3, first 2 shown]
	s_wait_kmcnt 0x0
	s_cmp_neq_f32 s9, 0
	s_mov_b32 s0, s8
	s_cselect_b32 s13, -1, 0
	s_ashr_i32 s1, s8, 31
	s_delay_alu instid0(SALU_CYCLE_1)
	v_cmp_gt_i64_e32 vcc_lo, s[0:1], v[0:1]
	s_add_nc_u64 s[0:1], s[18:19], s[16:17]
	s_delay_alu instid0(VALU_DEP_3) | instid1(SALU_CYCLE_1)
	v_lshl_add_u64 v[0:1], v[2:3], 2, s[0:1]
	s_delay_alu instid0(VALU_DEP_3)
	v_lshl_add_u64 v[2:3], v[4:5], 2, s[6:7]
	s_and_b32 s0, s13, vcc_lo
	s_branch .LBB23_3
.LBB23_2:                               ;   in Loop: Header=BB23_3 Depth=1
	s_wait_xcnt 0x0
	s_or_b32 exec_lo, exec_lo, s1
	s_add_co_i32 s2, s2, 0x10000
	s_delay_alu instid0(SALU_CYCLE_1)
	s_cmp_lt_u32 s2, s12
	s_cbranch_scc0 .LBB23_5
.LBB23_3:                               ; =>This Inner Loop Header: Depth=1
	s_and_saveexec_b32 s1, s0
	s_cbranch_execz .LBB23_2
; %bb.4:                                ;   in Loop: Header=BB23_3 Depth=1
	s_mul_u64 s[6:7], s[10:11], s[2:3]
	s_mul_u64 s[14:15], s[4:5], s[2:3]
	v_lshl_add_u64 v[4:5], s[6:7], 2, v[2:3]
	v_lshl_add_u64 v[6:7], s[14:15], 2, v[0:1]
	global_load_b32 v8, v[4:5], off
	global_load_b32 v9, v[6:7], off
	s_wait_loadcnt 0x0
	v_fmac_f32_e32 v8, s9, v9
	global_store_b32 v[4:5], v8, off
	s_branch .LBB23_2
.LBB23_5:
	s_endpgm
	.section	.rodata,"a",@progbits
	.p2align	6, 0x0
	.amdhsa_kernel _ZL19rocblas_axpy_kernelIlLi256EffPKfPfEviT2_lT3_lT_lT4_lS5_li
		.amdhsa_group_segment_fixed_size 0
		.amdhsa_private_segment_fixed_size 0
		.amdhsa_kernarg_size 84
		.amdhsa_user_sgpr_count 2
		.amdhsa_user_sgpr_dispatch_ptr 0
		.amdhsa_user_sgpr_queue_ptr 0
		.amdhsa_user_sgpr_kernarg_segment_ptr 1
		.amdhsa_user_sgpr_dispatch_id 0
		.amdhsa_user_sgpr_kernarg_preload_length 0
		.amdhsa_user_sgpr_kernarg_preload_offset 0
		.amdhsa_user_sgpr_private_segment_size 0
		.amdhsa_wavefront_size32 1
		.amdhsa_uses_dynamic_stack 0
		.amdhsa_enable_private_segment 0
		.amdhsa_system_sgpr_workgroup_id_x 1
		.amdhsa_system_sgpr_workgroup_id_y 0
		.amdhsa_system_sgpr_workgroup_id_z 1
		.amdhsa_system_sgpr_workgroup_info 0
		.amdhsa_system_vgpr_workitem_id 0
		.amdhsa_next_free_vgpr 10
		.amdhsa_next_free_sgpr 21
		.amdhsa_named_barrier_count 0
		.amdhsa_reserve_vcc 1
		.amdhsa_float_round_mode_32 0
		.amdhsa_float_round_mode_16_64 0
		.amdhsa_float_denorm_mode_32 3
		.amdhsa_float_denorm_mode_16_64 3
		.amdhsa_fp16_overflow 0
		.amdhsa_memory_ordered 1
		.amdhsa_forward_progress 1
		.amdhsa_inst_pref_size 3
		.amdhsa_round_robin_scheduling 0
		.amdhsa_exception_fp_ieee_invalid_op 0
		.amdhsa_exception_fp_denorm_src 0
		.amdhsa_exception_fp_ieee_div_zero 0
		.amdhsa_exception_fp_ieee_overflow 0
		.amdhsa_exception_fp_ieee_underflow 0
		.amdhsa_exception_fp_ieee_inexact 0
		.amdhsa_exception_int_div_zero 0
	.end_amdhsa_kernel
	.section	.text._ZL19rocblas_axpy_kernelIlLi256EffPKfPfEviT2_lT3_lT_lT4_lS5_li,"axG",@progbits,_ZL19rocblas_axpy_kernelIlLi256EffPKfPfEviT2_lT3_lT_lT4_lS5_li,comdat
.Lfunc_end23:
	.size	_ZL19rocblas_axpy_kernelIlLi256EffPKfPfEviT2_lT3_lT_lT4_lS5_li, .Lfunc_end23-_ZL19rocblas_axpy_kernelIlLi256EffPKfPfEviT2_lT3_lT_lT4_lS5_li
                                        ; -- End function
	.set _ZL19rocblas_axpy_kernelIlLi256EffPKfPfEviT2_lT3_lT_lT4_lS5_li.num_vgpr, 10
	.set _ZL19rocblas_axpy_kernelIlLi256EffPKfPfEviT2_lT3_lT_lT4_lS5_li.num_agpr, 0
	.set _ZL19rocblas_axpy_kernelIlLi256EffPKfPfEviT2_lT3_lT_lT4_lS5_li.numbered_sgpr, 21
	.set _ZL19rocblas_axpy_kernelIlLi256EffPKfPfEviT2_lT3_lT_lT4_lS5_li.num_named_barrier, 0
	.set _ZL19rocblas_axpy_kernelIlLi256EffPKfPfEviT2_lT3_lT_lT4_lS5_li.private_seg_size, 0
	.set _ZL19rocblas_axpy_kernelIlLi256EffPKfPfEviT2_lT3_lT_lT4_lS5_li.uses_vcc, 1
	.set _ZL19rocblas_axpy_kernelIlLi256EffPKfPfEviT2_lT3_lT_lT4_lS5_li.uses_flat_scratch, 0
	.set _ZL19rocblas_axpy_kernelIlLi256EffPKfPfEviT2_lT3_lT_lT4_lS5_li.has_dyn_sized_stack, 0
	.set _ZL19rocblas_axpy_kernelIlLi256EffPKfPfEviT2_lT3_lT_lT4_lS5_li.has_recursion, 0
	.set _ZL19rocblas_axpy_kernelIlLi256EffPKfPfEviT2_lT3_lT_lT4_lS5_li.has_indirect_call, 0
	.section	.AMDGPU.csdata,"",@progbits
; Kernel info:
; codeLenInByte = 368
; TotalNumSgprs: 23
; NumVgprs: 10
; ScratchSize: 0
; MemoryBound: 0
; FloatMode: 240
; IeeeMode: 1
; LDSByteSize: 0 bytes/workgroup (compile time only)
; SGPRBlocks: 0
; VGPRBlocks: 0
; NumSGPRsForWavesPerEU: 23
; NumVGPRsForWavesPerEU: 10
; NamedBarCnt: 0
; Occupancy: 16
; WaveLimiterHint : 0
; COMPUTE_PGM_RSRC2:SCRATCH_EN: 0
; COMPUTE_PGM_RSRC2:USER_SGPR: 2
; COMPUTE_PGM_RSRC2:TRAP_HANDLER: 0
; COMPUTE_PGM_RSRC2:TGID_X_EN: 1
; COMPUTE_PGM_RSRC2:TGID_Y_EN: 0
; COMPUTE_PGM_RSRC2:TGID_Z_EN: 1
; COMPUTE_PGM_RSRC2:TIDIG_COMP_CNT: 0
	.section	.text._ZL26rocblas_haxpy_mlt_8_kernelILi256EPKDF16_PKdPdEviT0_lT1_llT2_lli,"axG",@progbits,_ZL26rocblas_haxpy_mlt_8_kernelILi256EPKDF16_PKdPdEviT0_lT1_llT2_lli,comdat
	.globl	_ZL26rocblas_haxpy_mlt_8_kernelILi256EPKDF16_PKdPdEviT0_lT1_llT2_lli ; -- Begin function _ZL26rocblas_haxpy_mlt_8_kernelILi256EPKDF16_PKdPdEviT0_lT1_llT2_lli
	.p2align	8
	.type	_ZL26rocblas_haxpy_mlt_8_kernelILi256EPKDF16_PKdPdEviT0_lT1_llT2_lli,@function
_ZL26rocblas_haxpy_mlt_8_kernelILi256EPKDF16_PKdPdEviT0_lT1_llT2_lli: ; @_ZL26rocblas_haxpy_mlt_8_kernelILi256EPKDF16_PKdPdEviT0_lT1_llT2_lli
; %bb.0:
	s_load_b32 s20, s[0:1], 0x48
	s_bfe_u32 s2, ttmp6, 0x40014
	s_lshr_b32 s3, ttmp7, 16
	s_add_co_i32 s2, s2, 1
	s_bfe_u32 s4, ttmp6, 0x40008
	s_mul_i32 s2, s3, s2
	s_getreg_b32 s21, hwreg(HW_REG_IB_STS2, 6, 4)
	s_add_co_i32 s4, s4, s2
	s_cmp_eq_u32 s21, 0
	s_cselect_b32 s2, s3, s4
	s_mov_b32 s3, 0
	s_wait_kmcnt 0x0
	s_cmp_ge_u32 s2, s20
	s_cbranch_scc1 .LBB24_5
; %bb.1:
	s_clause 0x1
	s_load_b32 s22, s[0:1], 0x0
	s_load_b512 s[4:19], s[0:1], 0x8
	s_wait_xcnt 0x0
	s_bfe_u32 s0, ttmp6, 0x4000c
	s_and_b32 s1, ttmp6, 15
	s_add_co_i32 s0, s0, 1
	v_mov_b32_e32 v1, 0
	s_mul_i32 s0, ttmp9, s0
	s_delay_alu instid0(SALU_CYCLE_1)
	s_add_co_i32 s24, s1, s0
	s_wait_kmcnt 0x0
	s_ashr_i32 s23, s22, 31
	s_lshl_b64 s[0:1], s[16:17], 3
	s_lshl_b64 s[10:11], s[10:11], 3
	s_cmp_eq_u32 s21, 0
	s_add_nc_u64 s[0:1], s[14:15], s[0:1]
	s_cselect_b32 s16, ttmp9, s24
	s_add_nc_u64 s[8:9], s[8:9], s[10:11]
	v_lshl_or_b32 v0, s16, 8, v0
	s_delay_alu instid0(VALU_DEP_1) | instskip(SKIP_1) | instid1(VALU_DEP_2)
	v_lshlrev_b64_e32 v[2:3], 3, v[0:1]
	v_lshlrev_b64_e32 v[4:5], 6, v[0:1]
	v_cmp_le_i64_e32 vcc_lo, s[22:23], v[2:3]
	s_delay_alu instid0(VALU_DEP_2)
	v_add_nc_u64_e32 v[2:3], s[8:9], v[4:5]
	v_add_nc_u64_e32 v[4:5], s[0:1], v[4:5]
	s_xor_b32 s0, vcc_lo, -1
	s_branch .LBB24_3
.LBB24_2:                               ;   in Loop: Header=BB24_3 Depth=1
	s_wait_xcnt 0x0
	s_or_b32 exec_lo, exec_lo, s1
	s_add_co_i32 s2, s2, 0x10000
	s_delay_alu instid0(SALU_CYCLE_1)
	s_cmp_lt_u32 s2, s20
	s_cbranch_scc0 .LBB24_5
.LBB24_3:                               ; =>This Inner Loop Header: Depth=1
	s_mul_u64 s[8:9], s[6:7], s[2:3]
	s_delay_alu instid0(SALU_CYCLE_1) | instskip(NEXT) | instid1(SALU_CYCLE_1)
	s_lshl_b64 s[8:9], s[8:9], 1
	s_add_nc_u64 s[8:9], s[4:5], s[8:9]
	global_load_u16 v0, v1, s[8:9]
	s_wait_loadcnt 0x0
	v_readfirstlane_b32 s1, v0
	s_pack_ll_b32_b16 s1, s1, s1
	s_delay_alu instid0(SALU_CYCLE_1) | instskip(NEXT) | instid1(SALU_CYCLE_1)
	s_and_b32 s1, s1, 0x7fff
	s_cmp_lg_u32 s1, 0
	s_cselect_b32 s1, -1, 0
	s_wait_xcnt 0x0
	s_and_b32 s8, s1, s0
	s_delay_alu instid0(SALU_CYCLE_1)
	s_and_saveexec_b32 s1, s8
	s_cbranch_execz .LBB24_2
; %bb.4:                                ;   in Loop: Header=BB24_3 Depth=1
	s_mul_u64 s[8:9], s[18:19], s[2:3]
	s_mul_u64 s[10:11], s[12:13], s[2:3]
	v_lshl_add_u64 v[14:15], s[8:9], 3, v[4:5]
	v_lshl_add_u64 v[16:17], s[10:11], 3, v[2:3]
	global_load_b128 v[6:9], v[14:15], off
	global_load_b128 v[10:13], v[16:17], off
	s_wait_loadcnt 0x0
	v_pk_fma_f16 v9, v0, v13, v9 op_sel_hi:[0,1,1]
	v_pk_fma_f16 v8, v0, v12, v8 op_sel_hi:[0,1,1]
	;; [unrolled: 1-line block ×4, first 2 shown]
	global_store_b128 v[14:15], v[6:9], off
	s_branch .LBB24_2
.LBB24_5:
	s_endpgm
	.section	.rodata,"a",@progbits
	.p2align	6, 0x0
	.amdhsa_kernel _ZL26rocblas_haxpy_mlt_8_kernelILi256EPKDF16_PKdPdEviT0_lT1_llT2_lli
		.amdhsa_group_segment_fixed_size 0
		.amdhsa_private_segment_fixed_size 0
		.amdhsa_kernarg_size 76
		.amdhsa_user_sgpr_count 2
		.amdhsa_user_sgpr_dispatch_ptr 0
		.amdhsa_user_sgpr_queue_ptr 0
		.amdhsa_user_sgpr_kernarg_segment_ptr 1
		.amdhsa_user_sgpr_dispatch_id 0
		.amdhsa_user_sgpr_kernarg_preload_length 0
		.amdhsa_user_sgpr_kernarg_preload_offset 0
		.amdhsa_user_sgpr_private_segment_size 0
		.amdhsa_wavefront_size32 1
		.amdhsa_uses_dynamic_stack 0
		.amdhsa_enable_private_segment 0
		.amdhsa_system_sgpr_workgroup_id_x 1
		.amdhsa_system_sgpr_workgroup_id_y 0
		.amdhsa_system_sgpr_workgroup_id_z 1
		.amdhsa_system_sgpr_workgroup_info 0
		.amdhsa_system_vgpr_workitem_id 0
		.amdhsa_next_free_vgpr 18
		.amdhsa_next_free_sgpr 25
		.amdhsa_named_barrier_count 0
		.amdhsa_reserve_vcc 1
		.amdhsa_float_round_mode_32 0
		.amdhsa_float_round_mode_16_64 0
		.amdhsa_float_denorm_mode_32 3
		.amdhsa_float_denorm_mode_16_64 3
		.amdhsa_fp16_overflow 0
		.amdhsa_memory_ordered 1
		.amdhsa_forward_progress 1
		.amdhsa_inst_pref_size 4
		.amdhsa_round_robin_scheduling 0
		.amdhsa_exception_fp_ieee_invalid_op 0
		.amdhsa_exception_fp_denorm_src 0
		.amdhsa_exception_fp_ieee_div_zero 0
		.amdhsa_exception_fp_ieee_overflow 0
		.amdhsa_exception_fp_ieee_underflow 0
		.amdhsa_exception_fp_ieee_inexact 0
		.amdhsa_exception_int_div_zero 0
	.end_amdhsa_kernel
	.section	.text._ZL26rocblas_haxpy_mlt_8_kernelILi256EPKDF16_PKdPdEviT0_lT1_llT2_lli,"axG",@progbits,_ZL26rocblas_haxpy_mlt_8_kernelILi256EPKDF16_PKdPdEviT0_lT1_llT2_lli,comdat
.Lfunc_end24:
	.size	_ZL26rocblas_haxpy_mlt_8_kernelILi256EPKDF16_PKdPdEviT0_lT1_llT2_lli, .Lfunc_end24-_ZL26rocblas_haxpy_mlt_8_kernelILi256EPKDF16_PKdPdEviT0_lT1_llT2_lli
                                        ; -- End function
	.set _ZL26rocblas_haxpy_mlt_8_kernelILi256EPKDF16_PKdPdEviT0_lT1_llT2_lli.num_vgpr, 18
	.set _ZL26rocblas_haxpy_mlt_8_kernelILi256EPKDF16_PKdPdEviT0_lT1_llT2_lli.num_agpr, 0
	.set _ZL26rocblas_haxpy_mlt_8_kernelILi256EPKDF16_PKdPdEviT0_lT1_llT2_lli.numbered_sgpr, 25
	.set _ZL26rocblas_haxpy_mlt_8_kernelILi256EPKDF16_PKdPdEviT0_lT1_llT2_lli.num_named_barrier, 0
	.set _ZL26rocblas_haxpy_mlt_8_kernelILi256EPKDF16_PKdPdEviT0_lT1_llT2_lli.private_seg_size, 0
	.set _ZL26rocblas_haxpy_mlt_8_kernelILi256EPKDF16_PKdPdEviT0_lT1_llT2_lli.uses_vcc, 1
	.set _ZL26rocblas_haxpy_mlt_8_kernelILi256EPKDF16_PKdPdEviT0_lT1_llT2_lli.uses_flat_scratch, 0
	.set _ZL26rocblas_haxpy_mlt_8_kernelILi256EPKDF16_PKdPdEviT0_lT1_llT2_lli.has_dyn_sized_stack, 0
	.set _ZL26rocblas_haxpy_mlt_8_kernelILi256EPKDF16_PKdPdEviT0_lT1_llT2_lli.has_recursion, 0
	.set _ZL26rocblas_haxpy_mlt_8_kernelILi256EPKDF16_PKdPdEviT0_lT1_llT2_lli.has_indirect_call, 0
	.section	.AMDGPU.csdata,"",@progbits
; Kernel info:
; codeLenInByte = 412
; TotalNumSgprs: 27
; NumVgprs: 18
; ScratchSize: 0
; MemoryBound: 1
; FloatMode: 240
; IeeeMode: 1
; LDSByteSize: 0 bytes/workgroup (compile time only)
; SGPRBlocks: 0
; VGPRBlocks: 1
; NumSGPRsForWavesPerEU: 27
; NumVGPRsForWavesPerEU: 18
; NamedBarCnt: 0
; Occupancy: 16
; WaveLimiterHint : 0
; COMPUTE_PGM_RSRC2:SCRATCH_EN: 0
; COMPUTE_PGM_RSRC2:USER_SGPR: 2
; COMPUTE_PGM_RSRC2:TRAP_HANDLER: 0
; COMPUTE_PGM_RSRC2:TGID_X_EN: 1
; COMPUTE_PGM_RSRC2:TGID_Y_EN: 0
; COMPUTE_PGM_RSRC2:TGID_Z_EN: 1
; COMPUTE_PGM_RSRC2:TIDIG_COMP_CNT: 0
	.section	.text._ZL26rocblas_haxpy_mod_8_kernelILi256EPKdS1_PdEviT0_lT1_llT2_lli,"axG",@progbits,_ZL26rocblas_haxpy_mod_8_kernelILi256EPKdS1_PdEviT0_lT1_llT2_lli,comdat
	.globl	_ZL26rocblas_haxpy_mod_8_kernelILi256EPKdS1_PdEviT0_lT1_llT2_lli ; -- Begin function _ZL26rocblas_haxpy_mod_8_kernelILi256EPKdS1_PdEviT0_lT1_llT2_lli
	.p2align	8
	.type	_ZL26rocblas_haxpy_mod_8_kernelILi256EPKdS1_PdEviT0_lT1_llT2_lli,@function
_ZL26rocblas_haxpy_mod_8_kernelILi256EPKdS1_PdEviT0_lT1_llT2_lli: ; @_ZL26rocblas_haxpy_mod_8_kernelILi256EPKdS1_PdEviT0_lT1_llT2_lli
; %bb.0:
	s_load_b32 s20, s[0:1], 0x48
	s_bfe_u32 s2, ttmp6, 0x40014
	s_lshr_b32 s3, ttmp7, 16
	s_add_co_i32 s2, s2, 1
	s_bfe_u32 s4, ttmp6, 0x40008
	s_mul_i32 s2, s3, s2
	s_getreg_b32 s21, hwreg(HW_REG_IB_STS2, 6, 4)
	s_add_co_i32 s4, s4, s2
	s_cmp_eq_u32 s21, 0
	s_cselect_b32 s2, s3, s4
	s_mov_b32 s3, 0
	s_wait_kmcnt 0x0
	s_cmp_ge_u32 s2, s20
	s_cbranch_scc1 .LBB25_5
; %bb.1:
	s_clause 0x1
	s_load_b32 s22, s[0:1], 0x0
	s_load_b512 s[4:19], s[0:1], 0x8
	s_wait_xcnt 0x0
	s_bfe_u32 s0, ttmp6, 0x4000c
	s_and_b32 s1, ttmp6, 15
	s_add_co_i32 s0, s0, 1
	v_mov_b32_e32 v1, 0
	s_mul_i32 s0, ttmp9, s0
	s_delay_alu instid0(SALU_CYCLE_1) | instskip(SKIP_4) | instid1(SALU_CYCLE_1)
	s_add_co_i32 s1, s1, s0
	s_wait_kmcnt 0x0
	s_ashr_i32 s23, s22, 31
	s_cmp_eq_u32 s21, 0
	s_cselect_b32 s0, ttmp9, s1
	v_lshl_or_b32 v0, s0, 8, v0
	s_lshl_b64 s[0:1], s[10:11], 3
	s_lshl_b64 s[10:11], s[16:17], 3
	s_add_nc_u64 s[0:1], s[8:9], s[0:1]
	s_add_nc_u64 s[8:9], s[14:15], s[10:11]
	v_lshlrev_b64_e32 v[4:5], 3, v[0:1]
	v_cmp_gt_i64_e32 vcc_lo, s[22:23], v[0:1]
	s_delay_alu instid0(VALU_DEP_2)
	v_add_nc_u64_e32 v[2:3], s[0:1], v[4:5]
	v_add_nc_u64_e32 v[4:5], s[8:9], v[4:5]
	s_branch .LBB25_3
.LBB25_2:                               ;   in Loop: Header=BB25_3 Depth=1
	s_wait_xcnt 0x0
	s_or_b32 exec_lo, exec_lo, s0
	s_add_co_i32 s2, s2, 0x10000
	s_delay_alu instid0(SALU_CYCLE_1)
	s_cmp_lt_u32 s2, s20
	s_cbranch_scc0 .LBB25_5
.LBB25_3:                               ; =>This Inner Loop Header: Depth=1
	s_mul_u64 s[0:1], s[6:7], s[2:3]
	s_delay_alu instid0(SALU_CYCLE_1) | instskip(NEXT) | instid1(SALU_CYCLE_1)
	s_lshl_b64 s[0:1], s[0:1], 3
	s_add_nc_u64 s[0:1], s[4:5], s[0:1]
	global_load_b64 v[6:7], v1, s[0:1]
	s_wait_loadcnt 0x0
	s_wait_xcnt 0x0
	v_cmp_neq_f64_e64 s0, 0, v[6:7]
	s_and_b32 s1, vcc_lo, s0
	s_delay_alu instid0(SALU_CYCLE_1)
	s_and_saveexec_b32 s0, s1
	s_cbranch_execz .LBB25_2
; %bb.4:                                ;   in Loop: Header=BB25_3 Depth=1
	s_mul_u64 s[8:9], s[12:13], s[2:3]
	s_mul_u64 s[10:11], s[18:19], s[2:3]
	v_lshl_add_u64 v[8:9], s[8:9], 3, v[2:3]
	v_lshl_add_u64 v[10:11], s[10:11], 3, v[4:5]
	global_load_b64 v[12:13], v[8:9], off
	global_load_b64 v[14:15], v[10:11], off
	s_wait_loadcnt 0x0
	v_fmac_f64_e32 v[14:15], v[6:7], v[12:13]
	global_store_b64 v[10:11], v[14:15], off
	s_branch .LBB25_2
.LBB25_5:
	s_endpgm
	.section	.rodata,"a",@progbits
	.p2align	6, 0x0
	.amdhsa_kernel _ZL26rocblas_haxpy_mod_8_kernelILi256EPKdS1_PdEviT0_lT1_llT2_lli
		.amdhsa_group_segment_fixed_size 0
		.amdhsa_private_segment_fixed_size 0
		.amdhsa_kernarg_size 76
		.amdhsa_user_sgpr_count 2
		.amdhsa_user_sgpr_dispatch_ptr 0
		.amdhsa_user_sgpr_queue_ptr 0
		.amdhsa_user_sgpr_kernarg_segment_ptr 1
		.amdhsa_user_sgpr_dispatch_id 0
		.amdhsa_user_sgpr_kernarg_preload_length 0
		.amdhsa_user_sgpr_kernarg_preload_offset 0
		.amdhsa_user_sgpr_private_segment_size 0
		.amdhsa_wavefront_size32 1
		.amdhsa_uses_dynamic_stack 0
		.amdhsa_enable_private_segment 0
		.amdhsa_system_sgpr_workgroup_id_x 1
		.amdhsa_system_sgpr_workgroup_id_y 0
		.amdhsa_system_sgpr_workgroup_id_z 1
		.amdhsa_system_sgpr_workgroup_info 0
		.amdhsa_system_vgpr_workitem_id 0
		.amdhsa_next_free_vgpr 16
		.amdhsa_next_free_sgpr 24
		.amdhsa_named_barrier_count 0
		.amdhsa_reserve_vcc 1
		.amdhsa_float_round_mode_32 0
		.amdhsa_float_round_mode_16_64 0
		.amdhsa_float_denorm_mode_32 3
		.amdhsa_float_denorm_mode_16_64 3
		.amdhsa_fp16_overflow 0
		.amdhsa_memory_ordered 1
		.amdhsa_forward_progress 1
		.amdhsa_inst_pref_size 3
		.amdhsa_round_robin_scheduling 0
		.amdhsa_exception_fp_ieee_invalid_op 0
		.amdhsa_exception_fp_denorm_src 0
		.amdhsa_exception_fp_ieee_div_zero 0
		.amdhsa_exception_fp_ieee_overflow 0
		.amdhsa_exception_fp_ieee_underflow 0
		.amdhsa_exception_fp_ieee_inexact 0
		.amdhsa_exception_int_div_zero 0
	.end_amdhsa_kernel
	.section	.text._ZL26rocblas_haxpy_mod_8_kernelILi256EPKdS1_PdEviT0_lT1_llT2_lli,"axG",@progbits,_ZL26rocblas_haxpy_mod_8_kernelILi256EPKdS1_PdEviT0_lT1_llT2_lli,comdat
.Lfunc_end25:
	.size	_ZL26rocblas_haxpy_mod_8_kernelILi256EPKdS1_PdEviT0_lT1_llT2_lli, .Lfunc_end25-_ZL26rocblas_haxpy_mod_8_kernelILi256EPKdS1_PdEviT0_lT1_llT2_lli
                                        ; -- End function
	.set _ZL26rocblas_haxpy_mod_8_kernelILi256EPKdS1_PdEviT0_lT1_llT2_lli.num_vgpr, 16
	.set _ZL26rocblas_haxpy_mod_8_kernelILi256EPKdS1_PdEviT0_lT1_llT2_lli.num_agpr, 0
	.set _ZL26rocblas_haxpy_mod_8_kernelILi256EPKdS1_PdEviT0_lT1_llT2_lli.numbered_sgpr, 24
	.set _ZL26rocblas_haxpy_mod_8_kernelILi256EPKdS1_PdEviT0_lT1_llT2_lli.num_named_barrier, 0
	.set _ZL26rocblas_haxpy_mod_8_kernelILi256EPKdS1_PdEviT0_lT1_llT2_lli.private_seg_size, 0
	.set _ZL26rocblas_haxpy_mod_8_kernelILi256EPKdS1_PdEviT0_lT1_llT2_lli.uses_vcc, 1
	.set _ZL26rocblas_haxpy_mod_8_kernelILi256EPKdS1_PdEviT0_lT1_llT2_lli.uses_flat_scratch, 0
	.set _ZL26rocblas_haxpy_mod_8_kernelILi256EPKdS1_PdEviT0_lT1_llT2_lli.has_dyn_sized_stack, 0
	.set _ZL26rocblas_haxpy_mod_8_kernelILi256EPKdS1_PdEviT0_lT1_llT2_lli.has_recursion, 0
	.set _ZL26rocblas_haxpy_mod_8_kernelILi256EPKdS1_PdEviT0_lT1_llT2_lli.has_indirect_call, 0
	.section	.AMDGPU.csdata,"",@progbits
; Kernel info:
; codeLenInByte = 352
; TotalNumSgprs: 26
; NumVgprs: 16
; ScratchSize: 0
; MemoryBound: 0
; FloatMode: 240
; IeeeMode: 1
; LDSByteSize: 0 bytes/workgroup (compile time only)
; SGPRBlocks: 0
; VGPRBlocks: 0
; NumSGPRsForWavesPerEU: 26
; NumVGPRsForWavesPerEU: 16
; NamedBarCnt: 0
; Occupancy: 16
; WaveLimiterHint : 0
; COMPUTE_PGM_RSRC2:SCRATCH_EN: 0
; COMPUTE_PGM_RSRC2:USER_SGPR: 2
; COMPUTE_PGM_RSRC2:TRAP_HANDLER: 0
; COMPUTE_PGM_RSRC2:TGID_X_EN: 1
; COMPUTE_PGM_RSRC2:TGID_Y_EN: 0
; COMPUTE_PGM_RSRC2:TGID_Z_EN: 1
; COMPUTE_PGM_RSRC2:TIDIG_COMP_CNT: 0
	.section	.text._ZL26rocblas_haxpy_mlt_8_kernelILi256EDF16_PKdPdEviT0_lT1_llT2_lli,"axG",@progbits,_ZL26rocblas_haxpy_mlt_8_kernelILi256EDF16_PKdPdEviT0_lT1_llT2_lli,comdat
	.globl	_ZL26rocblas_haxpy_mlt_8_kernelILi256EDF16_PKdPdEviT0_lT1_llT2_lli ; -- Begin function _ZL26rocblas_haxpy_mlt_8_kernelILi256EDF16_PKdPdEviT0_lT1_llT2_lli
	.p2align	8
	.type	_ZL26rocblas_haxpy_mlt_8_kernelILi256EDF16_PKdPdEviT0_lT1_llT2_lli,@function
_ZL26rocblas_haxpy_mlt_8_kernelILi256EDF16_PKdPdEviT0_lT1_llT2_lli: ; @_ZL26rocblas_haxpy_mlt_8_kernelILi256EDF16_PKdPdEviT0_lT1_llT2_lli
; %bb.0:
	s_load_b32 s16, s[0:1], 0x40
	s_bfe_u32 s2, ttmp6, 0x40014
	s_lshr_b32 s3, ttmp7, 16
	s_add_co_i32 s2, s2, 1
	s_bfe_u32 s4, ttmp6, 0x40008
	s_mul_i32 s2, s3, s2
	s_getreg_b32 s17, hwreg(HW_REG_IB_STS2, 6, 4)
	s_add_co_i32 s4, s4, s2
	s_cmp_eq_u32 s17, 0
	s_cselect_b32 s2, s3, s4
	s_mov_b32 s3, 0
	s_wait_kmcnt 0x0
	s_cmp_ge_u32 s2, s16
	s_cbranch_scc1 .LBB26_5
; %bb.1:
	s_clause 0x2
	s_load_b128 s[12:15], s[0:1], 0x30
	s_load_b256 s[4:11], s[0:1], 0x10
	s_load_b64 s[18:19], s[0:1], 0x0
	s_wait_xcnt 0x0
	s_bfe_u32 s0, ttmp6, 0x4000c
	s_and_b32 s1, ttmp6, 15
	s_add_co_i32 s0, s0, 1
	v_mov_b32_e32 v1, 0
	s_mul_i32 s0, ttmp9, s0
	s_delay_alu instid0(SALU_CYCLE_1)
	s_add_co_i32 s1, s1, s0
	s_wait_kmcnt 0x0
	s_lshl_b64 s[12:13], s[12:13], 3
	s_lshl_b64 s[6:7], s[6:7], 3
	s_cmp_eq_u32 s17, 0
	s_add_nc_u64 s[4:5], s[4:5], s[6:7]
	s_cselect_b32 s0, ttmp9, s1
	s_add_nc_u64 s[6:7], s[10:11], s[12:13]
	v_lshl_or_b32 v0, s0, 8, v0
	s_pack_ll_b32_b16 s0, s19, s19
	s_delay_alu instid0(SALU_CYCLE_1) | instskip(NEXT) | instid1(SALU_CYCLE_1)
	s_and_b32 s1, s0, 0x7fff
	s_cmp_lg_u32 s1, 0
	s_delay_alu instid0(VALU_DEP_1) | instskip(SKIP_4) | instid1(VALU_DEP_2)
	v_lshlrev_b64_e32 v[2:3], 3, v[0:1]
	v_lshlrev_b64_e32 v[4:5], 6, v[0:1]
	s_cselect_b32 s17, -1, 0
	s_ashr_i32 s19, s18, 31
	s_mov_b32 s1, s0
	v_cmp_gt_i64_e32 vcc_lo, s[18:19], v[2:3]
	s_delay_alu instid0(VALU_DEP_2)
	v_add_nc_u64_e32 v[0:1], s[4:5], v[4:5]
	v_add_nc_u64_e32 v[2:3], s[6:7], v[4:5]
	s_mov_b32 s4, s0
	s_mov_b32 s6, s0
	s_and_b32 s5, s17, vcc_lo
	s_branch .LBB26_3
.LBB26_2:                               ;   in Loop: Header=BB26_3 Depth=1
	s_wait_xcnt 0x0
	s_or_b32 exec_lo, exec_lo, s7
	s_add_co_i32 s2, s2, 0x10000
	s_delay_alu instid0(SALU_CYCLE_1)
	s_cmp_lt_u32 s2, s16
	s_cbranch_scc0 .LBB26_5
.LBB26_3:                               ; =>This Inner Loop Header: Depth=1
	s_and_saveexec_b32 s7, s5
	s_cbranch_execz .LBB26_2
; %bb.4:                                ;   in Loop: Header=BB26_3 Depth=1
	s_mul_u64 s[10:11], s[14:15], s[2:3]
	s_mul_u64 s[12:13], s[8:9], s[2:3]
	v_lshl_add_u64 v[12:13], s[10:11], 3, v[2:3]
	v_lshl_add_u64 v[14:15], s[12:13], 3, v[0:1]
	global_load_b128 v[4:7], v[12:13], off
	global_load_b128 v[8:11], v[14:15], off
	s_wait_loadcnt 0x0
	v_pk_fma_f16 v7, s6, v11, v7
	v_pk_fma_f16 v6, s4, v10, v6
	v_pk_fma_f16 v5, s1, v9, v5
	v_pk_fma_f16 v4, s0, v8, v4
	global_store_b128 v[12:13], v[4:7], off
	s_branch .LBB26_2
.LBB26_5:
	s_endpgm
	.section	.rodata,"a",@progbits
	.p2align	6, 0x0
	.amdhsa_kernel _ZL26rocblas_haxpy_mlt_8_kernelILi256EDF16_PKdPdEviT0_lT1_llT2_lli
		.amdhsa_group_segment_fixed_size 0
		.amdhsa_private_segment_fixed_size 0
		.amdhsa_kernarg_size 68
		.amdhsa_user_sgpr_count 2
		.amdhsa_user_sgpr_dispatch_ptr 0
		.amdhsa_user_sgpr_queue_ptr 0
		.amdhsa_user_sgpr_kernarg_segment_ptr 1
		.amdhsa_user_sgpr_dispatch_id 0
		.amdhsa_user_sgpr_kernarg_preload_length 0
		.amdhsa_user_sgpr_kernarg_preload_offset 0
		.amdhsa_user_sgpr_private_segment_size 0
		.amdhsa_wavefront_size32 1
		.amdhsa_uses_dynamic_stack 0
		.amdhsa_enable_private_segment 0
		.amdhsa_system_sgpr_workgroup_id_x 1
		.amdhsa_system_sgpr_workgroup_id_y 0
		.amdhsa_system_sgpr_workgroup_id_z 1
		.amdhsa_system_sgpr_workgroup_info 0
		.amdhsa_system_vgpr_workitem_id 0
		.amdhsa_next_free_vgpr 16
		.amdhsa_next_free_sgpr 20
		.amdhsa_named_barrier_count 0
		.amdhsa_reserve_vcc 1
		.amdhsa_float_round_mode_32 0
		.amdhsa_float_round_mode_16_64 0
		.amdhsa_float_denorm_mode_32 3
		.amdhsa_float_denorm_mode_16_64 3
		.amdhsa_fp16_overflow 0
		.amdhsa_memory_ordered 1
		.amdhsa_forward_progress 1
		.amdhsa_inst_pref_size 3
		.amdhsa_round_robin_scheduling 0
		.amdhsa_exception_fp_ieee_invalid_op 0
		.amdhsa_exception_fp_denorm_src 0
		.amdhsa_exception_fp_ieee_div_zero 0
		.amdhsa_exception_fp_ieee_overflow 0
		.amdhsa_exception_fp_ieee_underflow 0
		.amdhsa_exception_fp_ieee_inexact 0
		.amdhsa_exception_int_div_zero 0
	.end_amdhsa_kernel
	.section	.text._ZL26rocblas_haxpy_mlt_8_kernelILi256EDF16_PKdPdEviT0_lT1_llT2_lli,"axG",@progbits,_ZL26rocblas_haxpy_mlt_8_kernelILi256EDF16_PKdPdEviT0_lT1_llT2_lli,comdat
.Lfunc_end26:
	.size	_ZL26rocblas_haxpy_mlt_8_kernelILi256EDF16_PKdPdEviT0_lT1_llT2_lli, .Lfunc_end26-_ZL26rocblas_haxpy_mlt_8_kernelILi256EDF16_PKdPdEviT0_lT1_llT2_lli
                                        ; -- End function
	.set _ZL26rocblas_haxpy_mlt_8_kernelILi256EDF16_PKdPdEviT0_lT1_llT2_lli.num_vgpr, 16
	.set _ZL26rocblas_haxpy_mlt_8_kernelILi256EDF16_PKdPdEviT0_lT1_llT2_lli.num_agpr, 0
	.set _ZL26rocblas_haxpy_mlt_8_kernelILi256EDF16_PKdPdEviT0_lT1_llT2_lli.numbered_sgpr, 20
	.set _ZL26rocblas_haxpy_mlt_8_kernelILi256EDF16_PKdPdEviT0_lT1_llT2_lli.num_named_barrier, 0
	.set _ZL26rocblas_haxpy_mlt_8_kernelILi256EDF16_PKdPdEviT0_lT1_llT2_lli.private_seg_size, 0
	.set _ZL26rocblas_haxpy_mlt_8_kernelILi256EDF16_PKdPdEviT0_lT1_llT2_lli.uses_vcc, 1
	.set _ZL26rocblas_haxpy_mlt_8_kernelILi256EDF16_PKdPdEviT0_lT1_llT2_lli.uses_flat_scratch, 0
	.set _ZL26rocblas_haxpy_mlt_8_kernelILi256EDF16_PKdPdEviT0_lT1_llT2_lli.has_dyn_sized_stack, 0
	.set _ZL26rocblas_haxpy_mlt_8_kernelILi256EDF16_PKdPdEviT0_lT1_llT2_lli.has_recursion, 0
	.set _ZL26rocblas_haxpy_mlt_8_kernelILi256EDF16_PKdPdEviT0_lT1_llT2_lli.has_indirect_call, 0
	.section	.AMDGPU.csdata,"",@progbits
; Kernel info:
; codeLenInByte = 384
; TotalNumSgprs: 22
; NumVgprs: 16
; ScratchSize: 0
; MemoryBound: 1
; FloatMode: 240
; IeeeMode: 1
; LDSByteSize: 0 bytes/workgroup (compile time only)
; SGPRBlocks: 0
; VGPRBlocks: 0
; NumSGPRsForWavesPerEU: 22
; NumVGPRsForWavesPerEU: 16
; NamedBarCnt: 0
; Occupancy: 16
; WaveLimiterHint : 0
; COMPUTE_PGM_RSRC2:SCRATCH_EN: 0
; COMPUTE_PGM_RSRC2:USER_SGPR: 2
; COMPUTE_PGM_RSRC2:TRAP_HANDLER: 0
; COMPUTE_PGM_RSRC2:TGID_X_EN: 1
; COMPUTE_PGM_RSRC2:TGID_Y_EN: 0
; COMPUTE_PGM_RSRC2:TGID_Z_EN: 1
; COMPUTE_PGM_RSRC2:TIDIG_COMP_CNT: 0
	.section	.text._ZL26rocblas_haxpy_mod_8_kernelILi256EdPKdPdEviT0_lT1_llT2_lli,"axG",@progbits,_ZL26rocblas_haxpy_mod_8_kernelILi256EdPKdPdEviT0_lT1_llT2_lli,comdat
	.globl	_ZL26rocblas_haxpy_mod_8_kernelILi256EdPKdPdEviT0_lT1_llT2_lli ; -- Begin function _ZL26rocblas_haxpy_mod_8_kernelILi256EdPKdPdEviT0_lT1_llT2_lli
	.p2align	8
	.type	_ZL26rocblas_haxpy_mod_8_kernelILi256EdPKdPdEviT0_lT1_llT2_lli,@function
_ZL26rocblas_haxpy_mod_8_kernelILi256EdPKdPdEviT0_lT1_llT2_lli: ; @_ZL26rocblas_haxpy_mod_8_kernelILi256EdPKdPdEviT0_lT1_llT2_lli
; %bb.0:
	s_load_b32 s18, s[0:1], 0x48
	s_bfe_u32 s2, ttmp6, 0x40014
	s_lshr_b32 s3, ttmp7, 16
	s_add_co_i32 s2, s2, 1
	s_bfe_u32 s4, ttmp6, 0x40008
	s_mul_i32 s2, s3, s2
	s_getreg_b32 s19, hwreg(HW_REG_IB_STS2, 6, 4)
	s_add_co_i32 s4, s4, s2
	s_cmp_eq_u32 s19, 0
	s_cselect_b32 s2, s3, s4
	s_mov_b32 s3, 0
	s_wait_kmcnt 0x0
	s_cmp_ge_u32 s2, s18
	s_cbranch_scc1 .LBB27_5
; %bb.1:
	s_clause 0x3
	s_load_b64 s[16:17], s[0:1], 0x8
	s_load_b32 s20, s[0:1], 0x0
	s_load_b256 s[4:11], s[0:1], 0x18
	s_load_b128 s[12:15], s[0:1], 0x38
	s_wait_xcnt 0x0
	s_bfe_u32 s0, ttmp6, 0x4000c
	s_and_b32 s1, ttmp6, 15
	s_add_co_i32 s0, s0, 1
	v_mov_b32_e32 v1, 0
	s_mul_i32 s0, ttmp9, s0
	s_delay_alu instid0(SALU_CYCLE_1)
	s_add_co_i32 s1, s1, s0
	s_wait_kmcnt 0x0
	v_cmp_neq_f64_e64 s22, s[16:17], 0
	s_ashr_i32 s21, s20, 31
	s_cmp_eq_u32 s19, 0
	s_cselect_b32 s0, ttmp9, s1
	s_delay_alu instid0(SALU_CYCLE_1)
	v_lshl_or_b32 v0, s0, 8, v0
	s_lshl_b64 s[0:1], s[6:7], 3
	s_lshl_b64 s[6:7], s[12:13], 3
	s_add_nc_u64 s[0:1], s[4:5], s[0:1]
	s_add_nc_u64 s[4:5], s[10:11], s[6:7]
	v_lshlrev_b64_e32 v[2:3], 3, v[0:1]
	v_cmp_gt_i64_e32 vcc_lo, s[20:21], v[0:1]
	s_delay_alu instid0(VALU_DEP_2)
	v_add_nc_u64_e32 v[0:1], s[0:1], v[2:3]
	v_add_nc_u64_e32 v[2:3], s[4:5], v[2:3]
	s_and_b32 s0, s22, vcc_lo
	s_branch .LBB27_3
.LBB27_2:                               ;   in Loop: Header=BB27_3 Depth=1
	s_wait_xcnt 0x0
	s_or_b32 exec_lo, exec_lo, s1
	s_add_co_i32 s2, s2, 0x10000
	s_delay_alu instid0(SALU_CYCLE_1)
	s_cmp_lt_u32 s2, s18
	s_cbranch_scc0 .LBB27_5
.LBB27_3:                               ; =>This Inner Loop Header: Depth=1
	s_and_saveexec_b32 s1, s0
	s_cbranch_execz .LBB27_2
; %bb.4:                                ;   in Loop: Header=BB27_3 Depth=1
	s_mul_u64 s[4:5], s[8:9], s[2:3]
	s_mul_u64 s[6:7], s[14:15], s[2:3]
	v_lshl_add_u64 v[4:5], s[4:5], 3, v[0:1]
	v_lshl_add_u64 v[6:7], s[6:7], 3, v[2:3]
	global_load_b64 v[8:9], v[4:5], off
	global_load_b64 v[10:11], v[6:7], off
	s_wait_loadcnt 0x0
	v_fmac_f64_e32 v[10:11], s[16:17], v[8:9]
	global_store_b64 v[6:7], v[10:11], off
	s_branch .LBB27_2
.LBB27_5:
	s_endpgm
	.section	.rodata,"a",@progbits
	.p2align	6, 0x0
	.amdhsa_kernel _ZL26rocblas_haxpy_mod_8_kernelILi256EdPKdPdEviT0_lT1_llT2_lli
		.amdhsa_group_segment_fixed_size 0
		.amdhsa_private_segment_fixed_size 0
		.amdhsa_kernarg_size 76
		.amdhsa_user_sgpr_count 2
		.amdhsa_user_sgpr_dispatch_ptr 0
		.amdhsa_user_sgpr_queue_ptr 0
		.amdhsa_user_sgpr_kernarg_segment_ptr 1
		.amdhsa_user_sgpr_dispatch_id 0
		.amdhsa_user_sgpr_kernarg_preload_length 0
		.amdhsa_user_sgpr_kernarg_preload_offset 0
		.amdhsa_user_sgpr_private_segment_size 0
		.amdhsa_wavefront_size32 1
		.amdhsa_uses_dynamic_stack 0
		.amdhsa_enable_private_segment 0
		.amdhsa_system_sgpr_workgroup_id_x 1
		.amdhsa_system_sgpr_workgroup_id_y 0
		.amdhsa_system_sgpr_workgroup_id_z 1
		.amdhsa_system_sgpr_workgroup_info 0
		.amdhsa_system_vgpr_workitem_id 0
		.amdhsa_next_free_vgpr 12
		.amdhsa_next_free_sgpr 23
		.amdhsa_named_barrier_count 0
		.amdhsa_reserve_vcc 1
		.amdhsa_float_round_mode_32 0
		.amdhsa_float_round_mode_16_64 0
		.amdhsa_float_denorm_mode_32 3
		.amdhsa_float_denorm_mode_16_64 3
		.amdhsa_fp16_overflow 0
		.amdhsa_memory_ordered 1
		.amdhsa_forward_progress 1
		.amdhsa_inst_pref_size 3
		.amdhsa_round_robin_scheduling 0
		.amdhsa_exception_fp_ieee_invalid_op 0
		.amdhsa_exception_fp_denorm_src 0
		.amdhsa_exception_fp_ieee_div_zero 0
		.amdhsa_exception_fp_ieee_overflow 0
		.amdhsa_exception_fp_ieee_underflow 0
		.amdhsa_exception_fp_ieee_inexact 0
		.amdhsa_exception_int_div_zero 0
	.end_amdhsa_kernel
	.section	.text._ZL26rocblas_haxpy_mod_8_kernelILi256EdPKdPdEviT0_lT1_llT2_lli,"axG",@progbits,_ZL26rocblas_haxpy_mod_8_kernelILi256EdPKdPdEviT0_lT1_llT2_lli,comdat
.Lfunc_end27:
	.size	_ZL26rocblas_haxpy_mod_8_kernelILi256EdPKdPdEviT0_lT1_llT2_lli, .Lfunc_end27-_ZL26rocblas_haxpy_mod_8_kernelILi256EdPKdPdEviT0_lT1_llT2_lli
                                        ; -- End function
	.set _ZL26rocblas_haxpy_mod_8_kernelILi256EdPKdPdEviT0_lT1_llT2_lli.num_vgpr, 12
	.set _ZL26rocblas_haxpy_mod_8_kernelILi256EdPKdPdEviT0_lT1_llT2_lli.num_agpr, 0
	.set _ZL26rocblas_haxpy_mod_8_kernelILi256EdPKdPdEviT0_lT1_llT2_lli.numbered_sgpr, 23
	.set _ZL26rocblas_haxpy_mod_8_kernelILi256EdPKdPdEviT0_lT1_llT2_lli.num_named_barrier, 0
	.set _ZL26rocblas_haxpy_mod_8_kernelILi256EdPKdPdEviT0_lT1_llT2_lli.private_seg_size, 0
	.set _ZL26rocblas_haxpy_mod_8_kernelILi256EdPKdPdEviT0_lT1_llT2_lli.uses_vcc, 1
	.set _ZL26rocblas_haxpy_mod_8_kernelILi256EdPKdPdEviT0_lT1_llT2_lli.uses_flat_scratch, 0
	.set _ZL26rocblas_haxpy_mod_8_kernelILi256EdPKdPdEviT0_lT1_llT2_lli.has_dyn_sized_stack, 0
	.set _ZL26rocblas_haxpy_mod_8_kernelILi256EdPKdPdEviT0_lT1_llT2_lli.has_recursion, 0
	.set _ZL26rocblas_haxpy_mod_8_kernelILi256EdPKdPdEviT0_lT1_llT2_lli.has_indirect_call, 0
	.section	.AMDGPU.csdata,"",@progbits
; Kernel info:
; codeLenInByte = 332
; TotalNumSgprs: 25
; NumVgprs: 12
; ScratchSize: 0
; MemoryBound: 0
; FloatMode: 240
; IeeeMode: 1
; LDSByteSize: 0 bytes/workgroup (compile time only)
; SGPRBlocks: 0
; VGPRBlocks: 0
; NumSGPRsForWavesPerEU: 25
; NumVGPRsForWavesPerEU: 12
; NamedBarCnt: 0
; Occupancy: 16
; WaveLimiterHint : 0
; COMPUTE_PGM_RSRC2:SCRATCH_EN: 0
; COMPUTE_PGM_RSRC2:USER_SGPR: 2
; COMPUTE_PGM_RSRC2:TRAP_HANDLER: 0
; COMPUTE_PGM_RSRC2:TGID_X_EN: 1
; COMPUTE_PGM_RSRC2:TGID_Y_EN: 0
; COMPUTE_PGM_RSRC2:TGID_Z_EN: 1
; COMPUTE_PGM_RSRC2:TIDIG_COMP_CNT: 0
	.section	.text._ZL22rocblas_saxpy_2_kernelILi256EdPKdS1_PdEviT1_lT2_llT3_lli,"axG",@progbits,_ZL22rocblas_saxpy_2_kernelILi256EdPKdS1_PdEviT1_lT2_llT3_lli,comdat
	.globl	_ZL22rocblas_saxpy_2_kernelILi256EdPKdS1_PdEviT1_lT2_llT3_lli ; -- Begin function _ZL22rocblas_saxpy_2_kernelILi256EdPKdS1_PdEviT1_lT2_llT3_lli
	.p2align	8
	.type	_ZL22rocblas_saxpy_2_kernelILi256EdPKdS1_PdEviT1_lT2_llT3_lli,@function
_ZL22rocblas_saxpy_2_kernelILi256EdPKdS1_PdEviT1_lT2_llT3_lli: ; @_ZL22rocblas_saxpy_2_kernelILi256EdPKdS1_PdEviT1_lT2_llT3_lli
; %bb.0:
	s_load_b32 s18, s[0:1], 0x48
	s_bfe_u32 s2, ttmp6, 0x40014
	s_lshr_b32 s3, ttmp7, 16
	s_add_co_i32 s2, s2, 1
	s_bfe_u32 s4, ttmp6, 0x40008
	s_mul_i32 s2, s3, s2
	s_getreg_b32 s16, hwreg(HW_REG_IB_STS2, 6, 4)
	s_add_co_i32 s4, s4, s2
	s_cmp_eq_u32 s16, 0
	s_cselect_b32 s2, s3, s4
	s_mov_b32 s3, 0
	s_wait_kmcnt 0x0
	s_cmp_ge_u32 s2, s18
	s_cbranch_scc1 .LBB28_9
; %bb.1:
	s_clause 0x4
	s_load_b32 s17, s[0:1], 0x0
	s_load_b128 s[4:7], s[0:1], 0x20
	s_load_b128 s[8:11], s[0:1], 0x38
	s_load_b64 s[20:21], s[0:1], 0x18
	s_load_b64 s[22:23], s[0:1], 0x30
	s_bfe_u32 s19, ttmp6, 0x4000c
	s_load_b128 s[12:15], s[0:1], 0x8
	s_add_co_i32 s19, s19, 1
	s_wait_xcnt 0x0
	s_and_b32 s0, ttmp6, 15
	s_mul_i32 s1, ttmp9, s19
	v_dual_mov_b32 v1, 0 :: v_dual_lshlrev_b32 v0, 1, v0
	s_add_co_i32 s0, s0, s1
	s_cmp_eq_u32 s16, 0
	s_cselect_b32 s0, ttmp9, s0
	s_delay_alu instid0(VALU_DEP_1) | instid1(SALU_CYCLE_1)
	v_lshl_or_b32 v0, s0, 9, v0
	s_wait_kmcnt 0x0
	s_add_co_i32 s0, s17, -1
	s_lshl_b64 s[4:5], s[4:5], 3
	s_ashr_i32 s1, s0, 31
	s_lshl_b64 s[8:9], s[8:9], 3
	v_cmp_eq_u64_e32 vcc_lo, s[0:1], v[0:1]
	v_cmp_gt_i64_e64 s0, s[0:1], v[0:1]
	v_lshlrev_b64_e32 v[0:1], 3, v[0:1]
	s_bitcmp1_b32 s17, 0
	s_add_nc_u64 s[4:5], s[20:21], s[4:5]
	s_cselect_b32 s1, -1, 0
	s_add_nc_u64 s[8:9], s[22:23], s[8:9]
	s_and_b32 s1, s1, vcc_lo
	s_branch .LBB28_4
.LBB28_2:                               ;   in Loop: Header=BB28_4 Depth=1
	s_wait_xcnt 0x0
	s_or_b32 exec_lo, exec_lo, s19
.LBB28_3:                               ;   in Loop: Header=BB28_4 Depth=1
	s_add_co_i32 s2, s2, 0x10000
	s_delay_alu instid0(SALU_CYCLE_1)
	s_cmp_lt_u32 s2, s18
	s_cbranch_scc0 .LBB28_9
.LBB28_4:                               ; =>This Inner Loop Header: Depth=1
	s_wait_xcnt 0x0
	s_mul_u64 s[16:17], s[14:15], s[2:3]
	s_delay_alu instid0(SALU_CYCLE_1) | instskip(NEXT) | instid1(SALU_CYCLE_1)
	s_lshl_b64 s[16:17], s[16:17], 3
	s_add_nc_u64 s[16:17], s[12:13], s[16:17]
	s_load_b64 s[16:17], s[16:17], 0x0
	s_wait_kmcnt 0x0
	v_cmp_eq_f64_e64 s19, s[16:17], 0
	s_and_b32 vcc_lo, exec_lo, s19
	s_cbranch_vccnz .LBB28_3
; %bb.5:                                ;   in Loop: Header=BB28_4 Depth=1
	s_mul_u64 s[20:21], s[10:11], s[2:3]
	s_mul_u64 s[22:23], s[6:7], s[2:3]
	s_lshl_b64 s[20:21], s[20:21], 3
	s_lshl_b64 s[22:23], s[22:23], 3
	s_add_nc_u64 s[20:21], s[8:9], s[20:21]
	s_add_nc_u64 s[22:23], s[4:5], s[22:23]
	v_add_nc_u64_e32 v[2:3], s[20:21], v[0:1]
	v_add_nc_u64_e32 v[4:5], s[22:23], v[0:1]
	s_and_saveexec_b32 s19, s0
	s_cbranch_execz .LBB28_7
; %bb.6:                                ;   in Loop: Header=BB28_4 Depth=1
	global_load_b128 v[6:9], v[2:3], off
	global_load_b128 v[10:13], v[4:5], off
	s_wait_loadcnt 0x0
	v_fmac_f64_e32 v[6:7], s[16:17], v[10:11]
	v_fmac_f64_e32 v[8:9], s[16:17], v[12:13]
	global_store_b128 v[2:3], v[6:9], off
.LBB28_7:                               ;   in Loop: Header=BB28_4 Depth=1
	s_wait_xcnt 0x0
	s_or_b32 exec_lo, exec_lo, s19
	s_and_saveexec_b32 s19, s1
	s_cbranch_execz .LBB28_2
; %bb.8:                                ;   in Loop: Header=BB28_4 Depth=1
	global_load_b64 v[6:7], v[2:3], off
	global_load_b64 v[8:9], v[4:5], off
	s_wait_loadcnt 0x0
	v_fmac_f64_e32 v[6:7], s[16:17], v[8:9]
	global_store_b64 v[2:3], v[6:7], off
	s_branch .LBB28_2
.LBB28_9:
	s_endpgm
	.section	.rodata,"a",@progbits
	.p2align	6, 0x0
	.amdhsa_kernel _ZL22rocblas_saxpy_2_kernelILi256EdPKdS1_PdEviT1_lT2_llT3_lli
		.amdhsa_group_segment_fixed_size 0
		.amdhsa_private_segment_fixed_size 0
		.amdhsa_kernarg_size 76
		.amdhsa_user_sgpr_count 2
		.amdhsa_user_sgpr_dispatch_ptr 0
		.amdhsa_user_sgpr_queue_ptr 0
		.amdhsa_user_sgpr_kernarg_segment_ptr 1
		.amdhsa_user_sgpr_dispatch_id 0
		.amdhsa_user_sgpr_kernarg_preload_length 0
		.amdhsa_user_sgpr_kernarg_preload_offset 0
		.amdhsa_user_sgpr_private_segment_size 0
		.amdhsa_wavefront_size32 1
		.amdhsa_uses_dynamic_stack 0
		.amdhsa_enable_private_segment 0
		.amdhsa_system_sgpr_workgroup_id_x 1
		.amdhsa_system_sgpr_workgroup_id_y 0
		.amdhsa_system_sgpr_workgroup_id_z 1
		.amdhsa_system_sgpr_workgroup_info 0
		.amdhsa_system_vgpr_workitem_id 0
		.amdhsa_next_free_vgpr 14
		.amdhsa_next_free_sgpr 24
		.amdhsa_named_barrier_count 0
		.amdhsa_reserve_vcc 1
		.amdhsa_float_round_mode_32 0
		.amdhsa_float_round_mode_16_64 0
		.amdhsa_float_denorm_mode_32 3
		.amdhsa_float_denorm_mode_16_64 3
		.amdhsa_fp16_overflow 0
		.amdhsa_memory_ordered 1
		.amdhsa_forward_progress 1
		.amdhsa_inst_pref_size 4
		.amdhsa_round_robin_scheduling 0
		.amdhsa_exception_fp_ieee_invalid_op 0
		.amdhsa_exception_fp_denorm_src 0
		.amdhsa_exception_fp_ieee_div_zero 0
		.amdhsa_exception_fp_ieee_overflow 0
		.amdhsa_exception_fp_ieee_underflow 0
		.amdhsa_exception_fp_ieee_inexact 0
		.amdhsa_exception_int_div_zero 0
	.end_amdhsa_kernel
	.section	.text._ZL22rocblas_saxpy_2_kernelILi256EdPKdS1_PdEviT1_lT2_llT3_lli,"axG",@progbits,_ZL22rocblas_saxpy_2_kernelILi256EdPKdS1_PdEviT1_lT2_llT3_lli,comdat
.Lfunc_end28:
	.size	_ZL22rocblas_saxpy_2_kernelILi256EdPKdS1_PdEviT1_lT2_llT3_lli, .Lfunc_end28-_ZL22rocblas_saxpy_2_kernelILi256EdPKdS1_PdEviT1_lT2_llT3_lli
                                        ; -- End function
	.set _ZL22rocblas_saxpy_2_kernelILi256EdPKdS1_PdEviT1_lT2_llT3_lli.num_vgpr, 14
	.set _ZL22rocblas_saxpy_2_kernelILi256EdPKdS1_PdEviT1_lT2_llT3_lli.num_agpr, 0
	.set _ZL22rocblas_saxpy_2_kernelILi256EdPKdS1_PdEviT1_lT2_llT3_lli.numbered_sgpr, 24
	.set _ZL22rocblas_saxpy_2_kernelILi256EdPKdS1_PdEviT1_lT2_llT3_lli.num_named_barrier, 0
	.set _ZL22rocblas_saxpy_2_kernelILi256EdPKdS1_PdEviT1_lT2_llT3_lli.private_seg_size, 0
	.set _ZL22rocblas_saxpy_2_kernelILi256EdPKdS1_PdEviT1_lT2_llT3_lli.uses_vcc, 1
	.set _ZL22rocblas_saxpy_2_kernelILi256EdPKdS1_PdEviT1_lT2_llT3_lli.uses_flat_scratch, 0
	.set _ZL22rocblas_saxpy_2_kernelILi256EdPKdS1_PdEviT1_lT2_llT3_lli.has_dyn_sized_stack, 0
	.set _ZL22rocblas_saxpy_2_kernelILi256EdPKdS1_PdEviT1_lT2_llT3_lli.has_recursion, 0
	.set _ZL22rocblas_saxpy_2_kernelILi256EdPKdS1_PdEviT1_lT2_llT3_lli.has_indirect_call, 0
	.section	.AMDGPU.csdata,"",@progbits
; Kernel info:
; codeLenInByte = 468
; TotalNumSgprs: 26
; NumVgprs: 14
; ScratchSize: 0
; MemoryBound: 0
; FloatMode: 240
; IeeeMode: 1
; LDSByteSize: 0 bytes/workgroup (compile time only)
; SGPRBlocks: 0
; VGPRBlocks: 0
; NumSGPRsForWavesPerEU: 26
; NumVGPRsForWavesPerEU: 14
; NamedBarCnt: 0
; Occupancy: 16
; WaveLimiterHint : 0
; COMPUTE_PGM_RSRC2:SCRATCH_EN: 0
; COMPUTE_PGM_RSRC2:USER_SGPR: 2
; COMPUTE_PGM_RSRC2:TRAP_HANDLER: 0
; COMPUTE_PGM_RSRC2:TGID_X_EN: 1
; COMPUTE_PGM_RSRC2:TGID_Y_EN: 0
; COMPUTE_PGM_RSRC2:TGID_Z_EN: 1
; COMPUTE_PGM_RSRC2:TIDIG_COMP_CNT: 0
	.section	.text._ZL22rocblas_saxpy_2_kernelILi256EddPKdPdEviT1_lT2_llT3_lli,"axG",@progbits,_ZL22rocblas_saxpy_2_kernelILi256EddPKdPdEviT1_lT2_llT3_lli,comdat
	.globl	_ZL22rocblas_saxpy_2_kernelILi256EddPKdPdEviT1_lT2_llT3_lli ; -- Begin function _ZL22rocblas_saxpy_2_kernelILi256EddPKdPdEviT1_lT2_llT3_lli
	.p2align	8
	.type	_ZL22rocblas_saxpy_2_kernelILi256EddPKdPdEviT1_lT2_llT3_lli,@function
_ZL22rocblas_saxpy_2_kernelILi256EddPKdPdEviT1_lT2_llT3_lli: ; @_ZL22rocblas_saxpy_2_kernelILi256EddPKdPdEviT1_lT2_llT3_lli
; %bb.0:
	s_load_b32 s14, s[0:1], 0x48
	s_bfe_u32 s2, ttmp6, 0x40014
	s_lshr_b32 s3, ttmp7, 16
	s_add_co_i32 s2, s2, 1
	s_bfe_u32 s4, ttmp6, 0x40008
	s_mul_i32 s2, s3, s2
	s_getreg_b32 s15, hwreg(HW_REG_IB_STS2, 6, 4)
	s_add_co_i32 s4, s4, s2
	s_cmp_eq_u32 s15, 0
	s_cselect_b32 s2, s3, s4
	s_mov_b32 s3, 0
	s_wait_kmcnt 0x0
	s_cmp_ge_u32 s2, s14
	s_cbranch_scc1 .LBB29_9
; %bb.1:
	s_clause 0x5
	s_load_b64 s[12:13], s[0:1], 0x8
	s_load_b128 s[4:7], s[0:1], 0x20
	s_load_b32 s22, s[0:1], 0x0
	s_load_b128 s[8:11], s[0:1], 0x38
	s_load_b64 s[16:17], s[0:1], 0x18
	s_load_b64 s[18:19], s[0:1], 0x30
	s_bfe_u32 s20, ttmp6, 0x4000c
	s_wait_xcnt 0x0
	s_and_b32 s0, ttmp6, 15
	s_add_co_i32 s20, s20, 1
	v_dual_mov_b32 v1, 0 :: v_dual_lshlrev_b32 v0, 1, v0
	s_mul_i32 s1, ttmp9, s20
	s_delay_alu instid0(SALU_CYCLE_1) | instskip(SKIP_2) | instid1(SALU_CYCLE_1)
	s_add_co_i32 s0, s0, s1
	s_cmp_eq_u32 s15, 0
	s_cselect_b32 s0, ttmp9, s0
	v_lshl_or_b32 v0, s0, 9, v0
	s_wait_kmcnt 0x0
	s_lshl_b64 s[0:1], s[4:5], 3
	s_add_co_i32 s20, s22, -1
	s_lshl_b64 s[8:9], s[8:9], 3
	s_add_nc_u64 s[4:5], s[16:17], s[0:1]
	v_cmp_neq_f64_e64 s1, s[12:13], 0
	s_ashr_i32 s21, s20, 31
	s_bitcmp1_b32 s22, 0
	v_cmp_eq_u64_e32 vcc_lo, s[20:21], v[0:1]
	v_cmp_gt_i64_e64 s0, s[20:21], v[0:1]
	v_lshlrev_b64_e32 v[0:1], 3, v[0:1]
	s_cselect_b32 s15, -1, 0
	s_add_nc_u64 s[8:9], s[18:19], s[8:9]
	s_and_b32 s15, s15, vcc_lo
	s_branch .LBB29_4
.LBB29_2:                               ;   in Loop: Header=BB29_4 Depth=1
	s_wait_xcnt 0x0
	s_or_b32 exec_lo, exec_lo, s16
.LBB29_3:                               ;   in Loop: Header=BB29_4 Depth=1
	s_add_co_i32 s2, s2, 0x10000
	s_delay_alu instid0(SALU_CYCLE_1)
	s_cmp_lt_u32 s2, s14
	s_cbranch_scc0 .LBB29_9
.LBB29_4:                               ; =>This Inner Loop Header: Depth=1
	s_and_not1_b32 vcc_lo, exec_lo, s1
	s_cbranch_vccnz .LBB29_3
; %bb.5:                                ;   in Loop: Header=BB29_4 Depth=1
	s_mul_u64 s[16:17], s[10:11], s[2:3]
	s_mul_u64 s[18:19], s[6:7], s[2:3]
	s_lshl_b64 s[16:17], s[16:17], 3
	s_lshl_b64 s[18:19], s[18:19], 3
	s_add_nc_u64 s[16:17], s[8:9], s[16:17]
	s_add_nc_u64 s[18:19], s[4:5], s[18:19]
	v_add_nc_u64_e32 v[2:3], s[16:17], v[0:1]
	v_add_nc_u64_e32 v[4:5], s[18:19], v[0:1]
	s_and_saveexec_b32 s16, s0
	s_cbranch_execz .LBB29_7
; %bb.6:                                ;   in Loop: Header=BB29_4 Depth=1
	global_load_b128 v[6:9], v[2:3], off
	global_load_b128 v[10:13], v[4:5], off
	s_wait_loadcnt 0x0
	v_fmac_f64_e32 v[6:7], s[12:13], v[10:11]
	v_fmac_f64_e32 v[8:9], s[12:13], v[12:13]
	global_store_b128 v[2:3], v[6:9], off
.LBB29_7:                               ;   in Loop: Header=BB29_4 Depth=1
	s_wait_xcnt 0x0
	s_or_b32 exec_lo, exec_lo, s16
	s_and_saveexec_b32 s16, s15
	s_cbranch_execz .LBB29_2
; %bb.8:                                ;   in Loop: Header=BB29_4 Depth=1
	global_load_b64 v[6:7], v[2:3], off
	global_load_b64 v[8:9], v[4:5], off
	s_wait_loadcnt 0x0
	v_fmac_f64_e32 v[6:7], s[12:13], v[8:9]
	global_store_b64 v[2:3], v[6:7], off
	s_branch .LBB29_2
.LBB29_9:
	s_endpgm
	.section	.rodata,"a",@progbits
	.p2align	6, 0x0
	.amdhsa_kernel _ZL22rocblas_saxpy_2_kernelILi256EddPKdPdEviT1_lT2_llT3_lli
		.amdhsa_group_segment_fixed_size 0
		.amdhsa_private_segment_fixed_size 0
		.amdhsa_kernarg_size 76
		.amdhsa_user_sgpr_count 2
		.amdhsa_user_sgpr_dispatch_ptr 0
		.amdhsa_user_sgpr_queue_ptr 0
		.amdhsa_user_sgpr_kernarg_segment_ptr 1
		.amdhsa_user_sgpr_dispatch_id 0
		.amdhsa_user_sgpr_kernarg_preload_length 0
		.amdhsa_user_sgpr_kernarg_preload_offset 0
		.amdhsa_user_sgpr_private_segment_size 0
		.amdhsa_wavefront_size32 1
		.amdhsa_uses_dynamic_stack 0
		.amdhsa_enable_private_segment 0
		.amdhsa_system_sgpr_workgroup_id_x 1
		.amdhsa_system_sgpr_workgroup_id_y 0
		.amdhsa_system_sgpr_workgroup_id_z 1
		.amdhsa_system_sgpr_workgroup_info 0
		.amdhsa_system_vgpr_workitem_id 0
		.amdhsa_next_free_vgpr 14
		.amdhsa_next_free_sgpr 23
		.amdhsa_named_barrier_count 0
		.amdhsa_reserve_vcc 1
		.amdhsa_float_round_mode_32 0
		.amdhsa_float_round_mode_16_64 0
		.amdhsa_float_denorm_mode_32 3
		.amdhsa_float_denorm_mode_16_64 3
		.amdhsa_fp16_overflow 0
		.amdhsa_memory_ordered 1
		.amdhsa_forward_progress 1
		.amdhsa_inst_pref_size 4
		.amdhsa_round_robin_scheduling 0
		.amdhsa_exception_fp_ieee_invalid_op 0
		.amdhsa_exception_fp_denorm_src 0
		.amdhsa_exception_fp_ieee_div_zero 0
		.amdhsa_exception_fp_ieee_overflow 0
		.amdhsa_exception_fp_ieee_underflow 0
		.amdhsa_exception_fp_ieee_inexact 0
		.amdhsa_exception_int_div_zero 0
	.end_amdhsa_kernel
	.section	.text._ZL22rocblas_saxpy_2_kernelILi256EddPKdPdEviT1_lT2_llT3_lli,"axG",@progbits,_ZL22rocblas_saxpy_2_kernelILi256EddPKdPdEviT1_lT2_llT3_lli,comdat
.Lfunc_end29:
	.size	_ZL22rocblas_saxpy_2_kernelILi256EddPKdPdEviT1_lT2_llT3_lli, .Lfunc_end29-_ZL22rocblas_saxpy_2_kernelILi256EddPKdPdEviT1_lT2_llT3_lli
                                        ; -- End function
	.set _ZL22rocblas_saxpy_2_kernelILi256EddPKdPdEviT1_lT2_llT3_lli.num_vgpr, 14
	.set _ZL22rocblas_saxpy_2_kernelILi256EddPKdPdEviT1_lT2_llT3_lli.num_agpr, 0
	.set _ZL22rocblas_saxpy_2_kernelILi256EddPKdPdEviT1_lT2_llT3_lli.numbered_sgpr, 23
	.set _ZL22rocblas_saxpy_2_kernelILi256EddPKdPdEviT1_lT2_llT3_lli.num_named_barrier, 0
	.set _ZL22rocblas_saxpy_2_kernelILi256EddPKdPdEviT1_lT2_llT3_lli.private_seg_size, 0
	.set _ZL22rocblas_saxpy_2_kernelILi256EddPKdPdEviT1_lT2_llT3_lli.uses_vcc, 1
	.set _ZL22rocblas_saxpy_2_kernelILi256EddPKdPdEviT1_lT2_llT3_lli.uses_flat_scratch, 0
	.set _ZL22rocblas_saxpy_2_kernelILi256EddPKdPdEviT1_lT2_llT3_lli.has_dyn_sized_stack, 0
	.set _ZL22rocblas_saxpy_2_kernelILi256EddPKdPdEviT1_lT2_llT3_lli.has_recursion, 0
	.set _ZL22rocblas_saxpy_2_kernelILi256EddPKdPdEviT1_lT2_llT3_lli.has_indirect_call, 0
	.section	.AMDGPU.csdata,"",@progbits
; Kernel info:
; codeLenInByte = 436
; TotalNumSgprs: 25
; NumVgprs: 14
; ScratchSize: 0
; MemoryBound: 0
; FloatMode: 240
; IeeeMode: 1
; LDSByteSize: 0 bytes/workgroup (compile time only)
; SGPRBlocks: 0
; VGPRBlocks: 0
; NumSGPRsForWavesPerEU: 25
; NumVGPRsForWavesPerEU: 14
; NamedBarCnt: 0
; Occupancy: 16
; WaveLimiterHint : 0
; COMPUTE_PGM_RSRC2:SCRATCH_EN: 0
; COMPUTE_PGM_RSRC2:USER_SGPR: 2
; COMPUTE_PGM_RSRC2:TRAP_HANDLER: 0
; COMPUTE_PGM_RSRC2:TGID_X_EN: 1
; COMPUTE_PGM_RSRC2:TGID_Y_EN: 0
; COMPUTE_PGM_RSRC2:TGID_Z_EN: 1
; COMPUTE_PGM_RSRC2:TIDIG_COMP_CNT: 0
	.section	.text._ZL27rocblas_axpy_kernel_batchedIiLi128ELi8EdPKdS1_PdEviT3_lT4_lT_lT5_lS5_li,"axG",@progbits,_ZL27rocblas_axpy_kernel_batchedIiLi128ELi8EdPKdS1_PdEviT3_lT4_lT_lT5_lS5_li,comdat
	.globl	_ZL27rocblas_axpy_kernel_batchedIiLi128ELi8EdPKdS1_PdEviT3_lT4_lT_lT5_lS5_li ; -- Begin function _ZL27rocblas_axpy_kernel_batchedIiLi128ELi8EdPKdS1_PdEviT3_lT4_lT_lT5_lS5_li
	.p2align	8
	.type	_ZL27rocblas_axpy_kernel_batchedIiLi128ELi8EdPKdS1_PdEviT3_lT4_lT_lT5_lS5_li,@function
_ZL27rocblas_axpy_kernel_batchedIiLi128ELi8EdPKdS1_PdEviT3_lT4_lT_lT5_lS5_li: ; @_ZL27rocblas_axpy_kernel_batchedIiLi128ELi8EdPKdS1_PdEviT3_lT4_lT_lT5_lS5_li
; %bb.0:
	s_load_b32 s4, s[0:1], 0x0
	s_bfe_u32 s2, ttmp6, 0x4000c
	s_and_b32 s3, ttmp6, 15
	s_add_co_i32 s5, s2, 1
	s_getreg_b32 s2, hwreg(HW_REG_IB_STS2, 6, 4)
	s_mul_i32 s5, ttmp9, s5
	v_and_b32_e32 v1, 0x3ff, v0
	s_add_co_i32 s3, s3, s5
	v_mov_b32_e32 v3, 0
	s_wait_kmcnt 0x0
	s_ashr_i32 s5, s4, 31
	s_cmp_eq_u32 s2, 0
	s_cselect_b32 s3, ttmp9, s3
	s_delay_alu instid0(SALU_CYCLE_1) | instskip(SKIP_1) | instid1(VALU_DEP_1)
	v_lshl_add_u32 v2, s3, 7, v1
	s_mov_b32 s3, exec_lo
	v_cmpx_gt_i64_e64 s[4:5], v[2:3]
	s_cbranch_execz .LBB30_15
; %bb.1:
	s_load_b32 s16, s[0:1], 0x58
	s_bfe_u32 s3, ttmp6, 0x40014
	v_lshrrev_b32_e32 v0, 8, v0
	s_lshr_b32 s4, ttmp7, 16
	s_add_co_i32 s3, s3, 1
	s_bfe_u32 s5, ttmp6, 0x40008
	s_mul_i32 s3, s4, s3
	v_and_b32_e32 v0, 0xffc, v0
	s_add_co_i32 s5, s5, s3
	s_cmp_eq_u32 s2, 0
	s_cselect_b32 s2, s4, s5
	s_delay_alu instid0(VALU_DEP_1) | instid1(SALU_CYCLE_1)
	v_lshl_add_u32 v0, s2, 5, v0
	s_wait_kmcnt 0x0
	s_delay_alu instid0(VALU_DEP_1)
	v_cmp_gt_u32_e32 vcc_lo, s16, v0
	s_and_b32 exec_lo, exec_lo, vcc_lo
	s_cbranch_execz .LBB30_15
; %bb.2:
	s_clause 0x4
	s_load_b32 s4, s[0:1], 0x28
	s_load_b96 s[20:22], s[0:1], 0x40
	s_load_b128 s[12:15], s[0:1], 0x30
	s_load_b64 s[2:3], s[0:1], 0x50
	s_load_b32 s17, s[0:1], 0x68
	v_mov_b32_e32 v1, 0
	s_wait_kmcnt 0x0
	s_ashr_i32 s5, s4, 31
	s_ashr_i32 s7, s22, 31
	s_mov_b32 s6, s22
	v_mul_u64_e32 v[4:5], s[4:5], v[2:3]
	v_mul_u64_e32 v[6:7], s[6:7], v[2:3]
	s_load_b256 s[4:11], s[0:1], 0x8
	s_wait_kmcnt 0x0
	s_lshl_b64 s[0:1], s[10:11], 3
	s_lshl_b64 s[10:11], s[20:21], 3
	s_add_nc_u64 s[0:1], s[8:9], s[0:1]
	s_add_nc_u64 s[8:9], s[14:15], s[10:11]
	s_delay_alu instid0(VALU_DEP_2) | instskip(NEXT) | instid1(VALU_DEP_2)
	v_lshl_add_u64 v[2:3], v[4:5], 3, s[0:1]
	v_lshl_add_u64 v[4:5], v[6:7], 3, s[8:9]
	s_lshl_b32 s0, s17, 5
	s_mov_b32 s1, 0
	s_branch .LBB30_4
.LBB30_3:                               ;   in Loop: Header=BB30_4 Depth=1
	s_wait_xcnt 0x0
	s_or_b32 exec_lo, exec_lo, s8
	v_add_nc_u32_e32 v0, s0, v0
	s_delay_alu instid0(VALU_DEP_1) | instskip(SKIP_1) | instid1(SALU_CYCLE_1)
	v_cmp_le_u32_e32 vcc_lo, s16, v0
	s_or_b32 s1, vcc_lo, s1
	s_and_not1_b32 exec_lo, exec_lo, s1
	s_cbranch_execz .LBB30_15
.LBB30_4:                               ; =>This Inner Loop Header: Depth=1
	v_mul_u64_e32 v[6:7], s[6:7], v[0:1]
	s_mov_b32 s8, exec_lo
	s_delay_alu instid0(VALU_DEP_1)
	v_lshl_add_u64 v[6:7], v[6:7], 3, s[4:5]
	global_load_b64 v[6:7], v[6:7], off
	s_wait_loadcnt 0x0
	s_wait_xcnt 0x0
	v_cmpx_neq_f64_e32 0, v[6:7]
	s_cbranch_execz .LBB30_6
; %bb.5:                                ;   in Loop: Header=BB30_4 Depth=1
	v_mul_u64_e32 v[8:9], s[2:3], v[0:1]
	v_mul_u64_e32 v[10:11], s[12:13], v[0:1]
	s_delay_alu instid0(VALU_DEP_2) | instskip(NEXT) | instid1(VALU_DEP_2)
	v_lshl_add_u64 v[8:9], v[8:9], 3, v[4:5]
	v_lshl_add_u64 v[10:11], v[10:11], 3, v[2:3]
	global_load_b64 v[12:13], v[8:9], off
	global_load_b64 v[14:15], v[10:11], off
	s_wait_loadcnt 0x0
	v_fmac_f64_e32 v[12:13], v[6:7], v[14:15]
	global_store_b64 v[8:9], v[12:13], off
.LBB30_6:                               ;   in Loop: Header=BB30_4 Depth=1
	s_wait_xcnt 0x0
	s_or_b32 exec_lo, exec_lo, s8
	v_add_nc_u32_e32 v6, 1, v0
	s_mov_b32 s8, exec_lo
	s_delay_alu instid0(VALU_DEP_1)
	v_cmpx_gt_u32_e64 s16, v6
	s_cbranch_execz .LBB30_9
; %bb.7:                                ;   in Loop: Header=BB30_4 Depth=1
	v_mov_b32_e32 v7, v1
	s_delay_alu instid0(VALU_DEP_1) | instskip(NEXT) | instid1(VALU_DEP_1)
	v_mul_u64_e32 v[8:9], s[6:7], v[6:7]
	v_lshl_add_u64 v[8:9], v[8:9], 3, s[4:5]
	global_load_b64 v[8:9], v[8:9], off
	s_wait_loadcnt 0x0
	v_cmp_neq_f64_e32 vcc_lo, 0, v[8:9]
	s_wait_xcnt 0x0
	s_and_b32 exec_lo, exec_lo, vcc_lo
	s_cbranch_execz .LBB30_9
; %bb.8:                                ;   in Loop: Header=BB30_4 Depth=1
	v_mul_u64_e32 v[10:11], s[2:3], v[6:7]
	v_mul_u64_e32 v[6:7], s[12:13], v[6:7]
	s_delay_alu instid0(VALU_DEP_2) | instskip(NEXT) | instid1(VALU_DEP_2)
	v_lshl_add_u64 v[10:11], v[10:11], 3, v[4:5]
	v_lshl_add_u64 v[6:7], v[6:7], 3, v[2:3]
	global_load_b64 v[12:13], v[10:11], off
	global_load_b64 v[14:15], v[6:7], off
	s_wait_loadcnt 0x0
	v_fmac_f64_e32 v[12:13], v[8:9], v[14:15]
	global_store_b64 v[10:11], v[12:13], off
.LBB30_9:                               ;   in Loop: Header=BB30_4 Depth=1
	s_wait_xcnt 0x0
	s_or_b32 exec_lo, exec_lo, s8
	v_add_nc_u32_e32 v6, 2, v0
	s_mov_b32 s8, exec_lo
	s_delay_alu instid0(VALU_DEP_1)
	v_cmpx_gt_u32_e64 s16, v6
	s_cbranch_execz .LBB30_12
; %bb.10:                               ;   in Loop: Header=BB30_4 Depth=1
	v_mov_b32_e32 v7, v1
	s_delay_alu instid0(VALU_DEP_1) | instskip(NEXT) | instid1(VALU_DEP_1)
	v_mul_u64_e32 v[8:9], s[6:7], v[6:7]
	v_lshl_add_u64 v[8:9], v[8:9], 3, s[4:5]
	global_load_b64 v[8:9], v[8:9], off
	s_wait_loadcnt 0x0
	v_cmp_neq_f64_e32 vcc_lo, 0, v[8:9]
	s_wait_xcnt 0x0
	s_and_b32 exec_lo, exec_lo, vcc_lo
	s_cbranch_execz .LBB30_12
; %bb.11:                               ;   in Loop: Header=BB30_4 Depth=1
	v_mul_u64_e32 v[10:11], s[2:3], v[6:7]
	v_mul_u64_e32 v[6:7], s[12:13], v[6:7]
	s_delay_alu instid0(VALU_DEP_2) | instskip(NEXT) | instid1(VALU_DEP_2)
	v_lshl_add_u64 v[10:11], v[10:11], 3, v[4:5]
	v_lshl_add_u64 v[6:7], v[6:7], 3, v[2:3]
	global_load_b64 v[12:13], v[10:11], off
	global_load_b64 v[14:15], v[6:7], off
	s_wait_loadcnt 0x0
	v_fmac_f64_e32 v[12:13], v[8:9], v[14:15]
	global_store_b64 v[10:11], v[12:13], off
.LBB30_12:                              ;   in Loop: Header=BB30_4 Depth=1
	s_wait_xcnt 0x0
	s_or_b32 exec_lo, exec_lo, s8
	v_add_nc_u32_e32 v6, 3, v0
	s_mov_b32 s8, exec_lo
	s_delay_alu instid0(VALU_DEP_1)
	v_cmpx_gt_u32_e64 s16, v6
	s_cbranch_execz .LBB30_3
; %bb.13:                               ;   in Loop: Header=BB30_4 Depth=1
	v_mov_b32_e32 v7, v1
	s_delay_alu instid0(VALU_DEP_1) | instskip(NEXT) | instid1(VALU_DEP_1)
	v_mul_u64_e32 v[8:9], s[6:7], v[6:7]
	v_lshl_add_u64 v[8:9], v[8:9], 3, s[4:5]
	global_load_b64 v[8:9], v[8:9], off
	s_wait_loadcnt 0x0
	v_cmp_neq_f64_e32 vcc_lo, 0, v[8:9]
	s_wait_xcnt 0x0
	s_and_b32 exec_lo, exec_lo, vcc_lo
	s_cbranch_execz .LBB30_3
; %bb.14:                               ;   in Loop: Header=BB30_4 Depth=1
	v_mul_u64_e32 v[10:11], s[2:3], v[6:7]
	v_mul_u64_e32 v[6:7], s[12:13], v[6:7]
	s_delay_alu instid0(VALU_DEP_2) | instskip(NEXT) | instid1(VALU_DEP_2)
	v_lshl_add_u64 v[10:11], v[10:11], 3, v[4:5]
	v_lshl_add_u64 v[6:7], v[6:7], 3, v[2:3]
	global_load_b64 v[12:13], v[10:11], off
	global_load_b64 v[14:15], v[6:7], off
	s_wait_loadcnt 0x0
	v_fmac_f64_e32 v[12:13], v[8:9], v[14:15]
	global_store_b64 v[10:11], v[12:13], off
	s_branch .LBB30_3
.LBB30_15:
	s_endpgm
	.section	.rodata,"a",@progbits
	.p2align	6, 0x0
	.amdhsa_kernel _ZL27rocblas_axpy_kernel_batchedIiLi128ELi8EdPKdS1_PdEviT3_lT4_lT_lT5_lS5_li
		.amdhsa_group_segment_fixed_size 0
		.amdhsa_private_segment_fixed_size 0
		.amdhsa_kernarg_size 352
		.amdhsa_user_sgpr_count 2
		.amdhsa_user_sgpr_dispatch_ptr 0
		.amdhsa_user_sgpr_queue_ptr 0
		.amdhsa_user_sgpr_kernarg_segment_ptr 1
		.amdhsa_user_sgpr_dispatch_id 0
		.amdhsa_user_sgpr_kernarg_preload_length 0
		.amdhsa_user_sgpr_kernarg_preload_offset 0
		.amdhsa_user_sgpr_private_segment_size 0
		.amdhsa_wavefront_size32 1
		.amdhsa_uses_dynamic_stack 0
		.amdhsa_enable_private_segment 0
		.amdhsa_system_sgpr_workgroup_id_x 1
		.amdhsa_system_sgpr_workgroup_id_y 0
		.amdhsa_system_sgpr_workgroup_id_z 1
		.amdhsa_system_sgpr_workgroup_info 0
		.amdhsa_system_vgpr_workitem_id 1
		.amdhsa_next_free_vgpr 16
		.amdhsa_next_free_sgpr 23
		.amdhsa_named_barrier_count 0
		.amdhsa_reserve_vcc 1
		.amdhsa_float_round_mode_32 0
		.amdhsa_float_round_mode_16_64 0
		.amdhsa_float_denorm_mode_32 3
		.amdhsa_float_denorm_mode_16_64 3
		.amdhsa_fp16_overflow 0
		.amdhsa_memory_ordered 1
		.amdhsa_forward_progress 1
		.amdhsa_inst_pref_size 8
		.amdhsa_round_robin_scheduling 0
		.amdhsa_exception_fp_ieee_invalid_op 0
		.amdhsa_exception_fp_denorm_src 0
		.amdhsa_exception_fp_ieee_div_zero 0
		.amdhsa_exception_fp_ieee_overflow 0
		.amdhsa_exception_fp_ieee_underflow 0
		.amdhsa_exception_fp_ieee_inexact 0
		.amdhsa_exception_int_div_zero 0
	.end_amdhsa_kernel
	.section	.text._ZL27rocblas_axpy_kernel_batchedIiLi128ELi8EdPKdS1_PdEviT3_lT4_lT_lT5_lS5_li,"axG",@progbits,_ZL27rocblas_axpy_kernel_batchedIiLi128ELi8EdPKdS1_PdEviT3_lT4_lT_lT5_lS5_li,comdat
.Lfunc_end30:
	.size	_ZL27rocblas_axpy_kernel_batchedIiLi128ELi8EdPKdS1_PdEviT3_lT4_lT_lT5_lS5_li, .Lfunc_end30-_ZL27rocblas_axpy_kernel_batchedIiLi128ELi8EdPKdS1_PdEviT3_lT4_lT_lT5_lS5_li
                                        ; -- End function
	.set _ZL27rocblas_axpy_kernel_batchedIiLi128ELi8EdPKdS1_PdEviT3_lT4_lT_lT5_lS5_li.num_vgpr, 16
	.set _ZL27rocblas_axpy_kernel_batchedIiLi128ELi8EdPKdS1_PdEviT3_lT4_lT_lT5_lS5_li.num_agpr, 0
	.set _ZL27rocblas_axpy_kernel_batchedIiLi128ELi8EdPKdS1_PdEviT3_lT4_lT_lT5_lS5_li.numbered_sgpr, 23
	.set _ZL27rocblas_axpy_kernel_batchedIiLi128ELi8EdPKdS1_PdEviT3_lT4_lT_lT5_lS5_li.num_named_barrier, 0
	.set _ZL27rocblas_axpy_kernel_batchedIiLi128ELi8EdPKdS1_PdEviT3_lT4_lT_lT5_lS5_li.private_seg_size, 0
	.set _ZL27rocblas_axpy_kernel_batchedIiLi128ELi8EdPKdS1_PdEviT3_lT4_lT_lT5_lS5_li.uses_vcc, 1
	.set _ZL27rocblas_axpy_kernel_batchedIiLi128ELi8EdPKdS1_PdEviT3_lT4_lT_lT5_lS5_li.uses_flat_scratch, 0
	.set _ZL27rocblas_axpy_kernel_batchedIiLi128ELi8EdPKdS1_PdEviT3_lT4_lT_lT5_lS5_li.has_dyn_sized_stack, 0
	.set _ZL27rocblas_axpy_kernel_batchedIiLi128ELi8EdPKdS1_PdEviT3_lT4_lT_lT5_lS5_li.has_recursion, 0
	.set _ZL27rocblas_axpy_kernel_batchedIiLi128ELi8EdPKdS1_PdEviT3_lT4_lT_lT5_lS5_li.has_indirect_call, 0
	.section	.AMDGPU.csdata,"",@progbits
; Kernel info:
; codeLenInByte = 944
; TotalNumSgprs: 25
; NumVgprs: 16
; ScratchSize: 0
; MemoryBound: 0
; FloatMode: 240
; IeeeMode: 1
; LDSByteSize: 0 bytes/workgroup (compile time only)
; SGPRBlocks: 0
; VGPRBlocks: 0
; NumSGPRsForWavesPerEU: 25
; NumVGPRsForWavesPerEU: 16
; NamedBarCnt: 0
; Occupancy: 16
; WaveLimiterHint : 0
; COMPUTE_PGM_RSRC2:SCRATCH_EN: 0
; COMPUTE_PGM_RSRC2:USER_SGPR: 2
; COMPUTE_PGM_RSRC2:TRAP_HANDLER: 0
; COMPUTE_PGM_RSRC2:TGID_X_EN: 1
; COMPUTE_PGM_RSRC2:TGID_Y_EN: 0
; COMPUTE_PGM_RSRC2:TGID_Z_EN: 1
; COMPUTE_PGM_RSRC2:TIDIG_COMP_CNT: 1
	.section	.text._ZL27rocblas_axpy_kernel_batchedIiLi128ELi8EddPKdPdEviT3_lT4_lT_lT5_lS5_li,"axG",@progbits,_ZL27rocblas_axpy_kernel_batchedIiLi128ELi8EddPKdPdEviT3_lT4_lT_lT5_lS5_li,comdat
	.globl	_ZL27rocblas_axpy_kernel_batchedIiLi128ELi8EddPKdPdEviT3_lT4_lT_lT5_lS5_li ; -- Begin function _ZL27rocblas_axpy_kernel_batchedIiLi128ELi8EddPKdPdEviT3_lT4_lT_lT5_lS5_li
	.p2align	8
	.type	_ZL27rocblas_axpy_kernel_batchedIiLi128ELi8EddPKdPdEviT3_lT4_lT_lT5_lS5_li,@function
_ZL27rocblas_axpy_kernel_batchedIiLi128ELi8EddPKdPdEviT3_lT4_lT_lT5_lS5_li: ; @_ZL27rocblas_axpy_kernel_batchedIiLi128ELi8EddPKdPdEviT3_lT4_lT_lT5_lS5_li
; %bb.0:
	s_load_b32 s4, s[0:1], 0x0
	s_bfe_u32 s2, ttmp6, 0x4000c
	s_and_b32 s3, ttmp6, 15
	s_add_co_i32 s5, s2, 1
	s_getreg_b32 s2, hwreg(HW_REG_IB_STS2, 6, 4)
	s_mul_i32 s5, ttmp9, s5
	v_and_b32_e32 v1, 0x3ff, v0
	s_add_co_i32 s3, s3, s5
	v_mov_b32_e32 v3, 0
	s_wait_kmcnt 0x0
	s_ashr_i32 s5, s4, 31
	s_cmp_eq_u32 s2, 0
	s_cselect_b32 s3, ttmp9, s3
	s_delay_alu instid0(SALU_CYCLE_1) | instskip(SKIP_1) | instid1(VALU_DEP_1)
	v_lshl_add_u32 v2, s3, 7, v1
	s_mov_b32 s3, exec_lo
	v_cmpx_gt_i64_e64 s[4:5], v[2:3]
	s_cbranch_execz .LBB31_12
; %bb.1:
	s_load_b32 s10, s[0:1], 0x58
	s_bfe_u32 s3, ttmp6, 0x40014
	v_lshrrev_b32_e32 v0, 8, v0
	s_lshr_b32 s4, ttmp7, 16
	s_add_co_i32 s3, s3, 1
	s_bfe_u32 s5, ttmp6, 0x40008
	s_mul_i32 s3, s4, s3
	v_and_b32_e32 v0, 0xffc, v0
	s_add_co_i32 s5, s5, s3
	s_cmp_eq_u32 s2, 0
	s_cselect_b32 s2, s4, s5
	s_delay_alu instid0(VALU_DEP_1) | instid1(SALU_CYCLE_1)
	v_lshl_add_u32 v0, s2, 5, v0
	s_wait_kmcnt 0x0
	s_delay_alu instid0(VALU_DEP_1)
	v_cmp_gt_u32_e32 vcc_lo, s10, v0
	s_and_b32 exec_lo, exec_lo, vcc_lo
	s_cbranch_execz .LBB31_12
; %bb.2:
	s_clause 0x4
	s_load_b32 s8, s[0:1], 0x28
	s_load_b96 s[16:18], s[0:1], 0x40
	s_load_b128 s[4:7], s[0:1], 0x30
	s_load_b64 s[2:3], s[0:1], 0x50
	s_load_b32 s11, s[0:1], 0x68
	v_mov_b32_e32 v1, 0
	s_wait_kmcnt 0x0
	s_ashr_i32 s9, s8, 31
	s_ashr_i32 s13, s18, 31
	s_mov_b32 s12, s18
	v_mul_u64_e32 v[4:5], s[8:9], v[2:3]
	v_mul_u64_e32 v[6:7], s[12:13], v[2:3]
	s_clause 0x1
	s_load_b128 s[12:15], s[0:1], 0x18
	s_load_b64 s[8:9], s[0:1], 0x8
	s_lshl_b64 s[16:17], s[16:17], 3
	s_wait_xcnt 0x0
	s_lshl_b32 s1, s11, 5
	s_add_nc_u64 s[6:7], s[6:7], s[16:17]
	s_wait_kmcnt 0x0
	s_lshl_b64 s[14:15], s[14:15], 3
	v_cmp_neq_f64_e64 s0, s[8:9], 0
	s_add_nc_u64 s[12:13], s[12:13], s[14:15]
	s_delay_alu instid0(SALU_CYCLE_1)
	v_lshl_add_u64 v[2:3], v[4:5], 3, s[12:13]
	v_lshl_add_u64 v[4:5], v[6:7], 3, s[6:7]
	s_mov_b32 s6, 0
	s_branch .LBB31_4
.LBB31_3:                               ;   in Loop: Header=BB31_4 Depth=1
	s_wait_xcnt 0x0
	s_or_b32 exec_lo, exec_lo, s7
	v_add_nc_u32_e32 v0, s1, v0
	s_delay_alu instid0(VALU_DEP_1) | instskip(SKIP_1) | instid1(SALU_CYCLE_1)
	v_cmp_le_u32_e32 vcc_lo, s10, v0
	s_or_b32 s6, vcc_lo, s6
	s_and_not1_b32 exec_lo, exec_lo, s6
	s_cbranch_execz .LBB31_12
.LBB31_4:                               ; =>This Inner Loop Header: Depth=1
	s_and_not1_b32 vcc_lo, exec_lo, s0
	s_cbranch_vccnz .LBB31_6
; %bb.5:                                ;   in Loop: Header=BB31_4 Depth=1
	v_mul_u64_e32 v[6:7], s[2:3], v[0:1]
	v_mul_u64_e32 v[8:9], s[4:5], v[0:1]
	s_delay_alu instid0(VALU_DEP_2) | instskip(NEXT) | instid1(VALU_DEP_2)
	v_lshl_add_u64 v[6:7], v[6:7], 3, v[4:5]
	v_lshl_add_u64 v[8:9], v[8:9], 3, v[2:3]
	global_load_b64 v[10:11], v[6:7], off
	global_load_b64 v[12:13], v[8:9], off
	s_wait_loadcnt 0x0
	v_fmac_f64_e32 v[10:11], s[8:9], v[12:13]
	global_store_b64 v[6:7], v[10:11], off
.LBB31_6:                               ;   in Loop: Header=BB31_4 Depth=1
	s_wait_xcnt 0x0
	v_add_nc_u32_e32 v6, 1, v0
	s_delay_alu instid0(VALU_DEP_1) | instskip(SKIP_1) | instid1(SALU_CYCLE_1)
	v_cmp_gt_u32_e32 vcc_lo, s10, v6
	s_and_b32 s11, s0, vcc_lo
	s_and_saveexec_b32 s7, s11
	s_cbranch_execz .LBB31_8
; %bb.7:                                ;   in Loop: Header=BB31_4 Depth=1
	v_mov_b32_e32 v7, v1
	s_delay_alu instid0(VALU_DEP_1) | instskip(SKIP_1) | instid1(VALU_DEP_2)
	v_mul_u64_e32 v[8:9], s[2:3], v[6:7]
	v_mul_u64_e32 v[6:7], s[4:5], v[6:7]
	v_lshl_add_u64 v[8:9], v[8:9], 3, v[4:5]
	s_delay_alu instid0(VALU_DEP_2)
	v_lshl_add_u64 v[6:7], v[6:7], 3, v[2:3]
	global_load_b64 v[10:11], v[8:9], off
	global_load_b64 v[12:13], v[6:7], off
	s_wait_loadcnt 0x0
	v_fmac_f64_e32 v[10:11], s[8:9], v[12:13]
	global_store_b64 v[8:9], v[10:11], off
.LBB31_8:                               ;   in Loop: Header=BB31_4 Depth=1
	s_wait_xcnt 0x0
	s_or_b32 exec_lo, exec_lo, s7
	v_add_nc_u32_e32 v6, 2, v0
	s_delay_alu instid0(VALU_DEP_1) | instskip(SKIP_1) | instid1(SALU_CYCLE_1)
	v_cmp_gt_u32_e32 vcc_lo, s10, v6
	s_and_b32 s11, s0, vcc_lo
	s_and_saveexec_b32 s7, s11
	s_cbranch_execz .LBB31_10
; %bb.9:                                ;   in Loop: Header=BB31_4 Depth=1
	v_mov_b32_e32 v7, v1
	s_delay_alu instid0(VALU_DEP_1) | instskip(SKIP_1) | instid1(VALU_DEP_2)
	v_mul_u64_e32 v[8:9], s[2:3], v[6:7]
	v_mul_u64_e32 v[6:7], s[4:5], v[6:7]
	v_lshl_add_u64 v[8:9], v[8:9], 3, v[4:5]
	s_delay_alu instid0(VALU_DEP_2)
	v_lshl_add_u64 v[6:7], v[6:7], 3, v[2:3]
	global_load_b64 v[10:11], v[8:9], off
	global_load_b64 v[12:13], v[6:7], off
	s_wait_loadcnt 0x0
	v_fmac_f64_e32 v[10:11], s[8:9], v[12:13]
	global_store_b64 v[8:9], v[10:11], off
.LBB31_10:                              ;   in Loop: Header=BB31_4 Depth=1
	s_wait_xcnt 0x0
	s_or_b32 exec_lo, exec_lo, s7
	v_add_nc_u32_e32 v6, 3, v0
	s_delay_alu instid0(VALU_DEP_1) | instskip(SKIP_1) | instid1(SALU_CYCLE_1)
	v_cmp_gt_u32_e32 vcc_lo, s10, v6
	s_and_b32 s11, s0, vcc_lo
	s_and_saveexec_b32 s7, s11
	s_cbranch_execz .LBB31_3
; %bb.11:                               ;   in Loop: Header=BB31_4 Depth=1
	v_mov_b32_e32 v7, v1
	s_delay_alu instid0(VALU_DEP_1) | instskip(SKIP_1) | instid1(VALU_DEP_2)
	v_mul_u64_e32 v[8:9], s[2:3], v[6:7]
	v_mul_u64_e32 v[6:7], s[4:5], v[6:7]
	v_lshl_add_u64 v[8:9], v[8:9], 3, v[4:5]
	s_delay_alu instid0(VALU_DEP_2)
	v_lshl_add_u64 v[6:7], v[6:7], 3, v[2:3]
	global_load_b64 v[10:11], v[8:9], off
	global_load_b64 v[12:13], v[6:7], off
	s_wait_loadcnt 0x0
	v_fmac_f64_e32 v[10:11], s[8:9], v[12:13]
	global_store_b64 v[8:9], v[10:11], off
	s_branch .LBB31_3
.LBB31_12:
	s_endpgm
	.section	.rodata,"a",@progbits
	.p2align	6, 0x0
	.amdhsa_kernel _ZL27rocblas_axpy_kernel_batchedIiLi128ELi8EddPKdPdEviT3_lT4_lT_lT5_lS5_li
		.amdhsa_group_segment_fixed_size 0
		.amdhsa_private_segment_fixed_size 0
		.amdhsa_kernarg_size 352
		.amdhsa_user_sgpr_count 2
		.amdhsa_user_sgpr_dispatch_ptr 0
		.amdhsa_user_sgpr_queue_ptr 0
		.amdhsa_user_sgpr_kernarg_segment_ptr 1
		.amdhsa_user_sgpr_dispatch_id 0
		.amdhsa_user_sgpr_kernarg_preload_length 0
		.amdhsa_user_sgpr_kernarg_preload_offset 0
		.amdhsa_user_sgpr_private_segment_size 0
		.amdhsa_wavefront_size32 1
		.amdhsa_uses_dynamic_stack 0
		.amdhsa_enable_private_segment 0
		.amdhsa_system_sgpr_workgroup_id_x 1
		.amdhsa_system_sgpr_workgroup_id_y 0
		.amdhsa_system_sgpr_workgroup_id_z 1
		.amdhsa_system_sgpr_workgroup_info 0
		.amdhsa_system_vgpr_workitem_id 1
		.amdhsa_next_free_vgpr 14
		.amdhsa_next_free_sgpr 19
		.amdhsa_named_barrier_count 0
		.amdhsa_reserve_vcc 1
		.amdhsa_float_round_mode_32 0
		.amdhsa_float_round_mode_16_64 0
		.amdhsa_float_denorm_mode_32 3
		.amdhsa_float_denorm_mode_16_64 3
		.amdhsa_fp16_overflow 0
		.amdhsa_memory_ordered 1
		.amdhsa_forward_progress 1
		.amdhsa_inst_pref_size 7
		.amdhsa_round_robin_scheduling 0
		.amdhsa_exception_fp_ieee_invalid_op 0
		.amdhsa_exception_fp_denorm_src 0
		.amdhsa_exception_fp_ieee_div_zero 0
		.amdhsa_exception_fp_ieee_overflow 0
		.amdhsa_exception_fp_ieee_underflow 0
		.amdhsa_exception_fp_ieee_inexact 0
		.amdhsa_exception_int_div_zero 0
	.end_amdhsa_kernel
	.section	.text._ZL27rocblas_axpy_kernel_batchedIiLi128ELi8EddPKdPdEviT3_lT4_lT_lT5_lS5_li,"axG",@progbits,_ZL27rocblas_axpy_kernel_batchedIiLi128ELi8EddPKdPdEviT3_lT4_lT_lT5_lS5_li,comdat
.Lfunc_end31:
	.size	_ZL27rocblas_axpy_kernel_batchedIiLi128ELi8EddPKdPdEviT3_lT4_lT_lT5_lS5_li, .Lfunc_end31-_ZL27rocblas_axpy_kernel_batchedIiLi128ELi8EddPKdPdEviT3_lT4_lT_lT5_lS5_li
                                        ; -- End function
	.set _ZL27rocblas_axpy_kernel_batchedIiLi128ELi8EddPKdPdEviT3_lT4_lT_lT5_lS5_li.num_vgpr, 14
	.set _ZL27rocblas_axpy_kernel_batchedIiLi128ELi8EddPKdPdEviT3_lT4_lT_lT5_lS5_li.num_agpr, 0
	.set _ZL27rocblas_axpy_kernel_batchedIiLi128ELi8EddPKdPdEviT3_lT4_lT_lT5_lS5_li.numbered_sgpr, 19
	.set _ZL27rocblas_axpy_kernel_batchedIiLi128ELi8EddPKdPdEviT3_lT4_lT_lT5_lS5_li.num_named_barrier, 0
	.set _ZL27rocblas_axpy_kernel_batchedIiLi128ELi8EddPKdPdEviT3_lT4_lT_lT5_lS5_li.private_seg_size, 0
	.set _ZL27rocblas_axpy_kernel_batchedIiLi128ELi8EddPKdPdEviT3_lT4_lT_lT5_lS5_li.uses_vcc, 1
	.set _ZL27rocblas_axpy_kernel_batchedIiLi128ELi8EddPKdPdEviT3_lT4_lT_lT5_lS5_li.uses_flat_scratch, 0
	.set _ZL27rocblas_axpy_kernel_batchedIiLi128ELi8EddPKdPdEviT3_lT4_lT_lT5_lS5_li.has_dyn_sized_stack, 0
	.set _ZL27rocblas_axpy_kernel_batchedIiLi128ELi8EddPKdPdEviT3_lT4_lT_lT5_lS5_li.has_recursion, 0
	.set _ZL27rocblas_axpy_kernel_batchedIiLi128ELi8EddPKdPdEviT3_lT4_lT_lT5_lS5_li.has_indirect_call, 0
	.section	.AMDGPU.csdata,"",@progbits
; Kernel info:
; codeLenInByte = 792
; TotalNumSgprs: 21
; NumVgprs: 14
; ScratchSize: 0
; MemoryBound: 0
; FloatMode: 240
; IeeeMode: 1
; LDSByteSize: 0 bytes/workgroup (compile time only)
; SGPRBlocks: 0
; VGPRBlocks: 0
; NumSGPRsForWavesPerEU: 21
; NumVGPRsForWavesPerEU: 14
; NamedBarCnt: 0
; Occupancy: 16
; WaveLimiterHint : 0
; COMPUTE_PGM_RSRC2:SCRATCH_EN: 0
; COMPUTE_PGM_RSRC2:USER_SGPR: 2
; COMPUTE_PGM_RSRC2:TRAP_HANDLER: 0
; COMPUTE_PGM_RSRC2:TGID_X_EN: 1
; COMPUTE_PGM_RSRC2:TGID_Y_EN: 0
; COMPUTE_PGM_RSRC2:TGID_Z_EN: 1
; COMPUTE_PGM_RSRC2:TIDIG_COMP_CNT: 1
	.section	.text._ZL19rocblas_axpy_kernelIiLi256EdPKdS1_PdEviT2_lT3_lT_lT4_lS5_li,"axG",@progbits,_ZL19rocblas_axpy_kernelIiLi256EdPKdS1_PdEviT2_lT3_lT_lT4_lS5_li,comdat
	.globl	_ZL19rocblas_axpy_kernelIiLi256EdPKdS1_PdEviT2_lT3_lT_lT4_lS5_li ; -- Begin function _ZL19rocblas_axpy_kernelIiLi256EdPKdS1_PdEviT2_lT3_lT_lT4_lS5_li
	.p2align	8
	.type	_ZL19rocblas_axpy_kernelIiLi256EdPKdS1_PdEviT2_lT3_lT_lT4_lS5_li,@function
_ZL19rocblas_axpy_kernelIiLi256EdPKdS1_PdEviT2_lT3_lT_lT4_lS5_li: ; @_ZL19rocblas_axpy_kernelIiLi256EdPKdS1_PdEviT2_lT3_lT_lT4_lS5_li
; %bb.0:
	s_load_b32 s18, s[0:1], 0x58
	s_bfe_u32 s2, ttmp6, 0x40014
	s_lshr_b32 s3, ttmp7, 16
	s_add_co_i32 s2, s2, 1
	s_bfe_u32 s4, ttmp6, 0x40008
	s_mul_i32 s2, s3, s2
	s_getreg_b32 s12, hwreg(HW_REG_IB_STS2, 6, 4)
	s_add_co_i32 s4, s4, s2
	s_cmp_eq_u32 s12, 0
	s_cselect_b32 s2, s3, s4
	s_mov_b32 s3, 0
	s_wait_kmcnt 0x0
	s_cmp_ge_u32 s2, s18
	s_cbranch_scc1 .LBB32_5
; %bb.1:
	s_clause 0x3
	s_load_b32 s24, s[0:1], 0x0
	s_load_b32 s14, s[0:1], 0x28
	s_load_b96 s[20:22], s[0:1], 0x40
	s_load_b256 s[4:11], s[0:1], 0x8
	s_bfe_u32 s13, ttmp6, 0x4000c
	s_and_b32 s15, ttmp6, 15
	s_add_co_i32 s13, s13, 1
	v_mov_b32_e32 v1, 0
	s_mul_i32 s13, ttmp9, s13
	s_load_b64 s[16:17], s[0:1], 0x50
	s_add_co_i32 s19, s15, s13
	s_wait_kmcnt 0x0
	s_ashr_i32 s25, s24, 31
	s_ashr_i32 s15, s14, 31
	;; [unrolled: 1-line block ×3, first 2 shown]
	s_lshl_b64 s[20:21], s[20:21], 3
	s_lshl_b64 s[10:11], s[10:11], 3
	s_cmp_eq_u32 s12, 0
	s_add_nc_u64 s[8:9], s[8:9], s[10:11]
	s_cselect_b32 s12, ttmp9, s19
	s_delay_alu instid0(SALU_CYCLE_1) | instskip(SKIP_1) | instid1(VALU_DEP_1)
	v_lshl_or_b32 v0, s12, 8, v0
	s_mov_b32 s12, s22
	v_mul_u64_e32 v[2:3], s[14:15], v[0:1]
	v_mul_u64_e32 v[4:5], s[12:13], v[0:1]
	s_load_b128 s[12:15], s[0:1], 0x30
	v_cmp_gt_i64_e32 vcc_lo, s[24:25], v[0:1]
	s_wait_kmcnt 0x0
	s_add_nc_u64 s[0:1], s[14:15], s[20:21]
	s_delay_alu instid0(VALU_DEP_3) | instskip(NEXT) | instid1(VALU_DEP_3)
	v_lshl_add_u64 v[0:1], v[2:3], 3, s[8:9]
	v_lshl_add_u64 v[2:3], v[4:5], 3, s[0:1]
	s_branch .LBB32_3
.LBB32_2:                               ;   in Loop: Header=BB32_3 Depth=1
	s_wait_xcnt 0x0
	s_or_b32 exec_lo, exec_lo, s8
	s_add_co_i32 s2, s2, 0x10000
	s_delay_alu instid0(SALU_CYCLE_1)
	s_cmp_lt_u32 s2, s18
	s_cbranch_scc0 .LBB32_5
.LBB32_3:                               ; =>This Inner Loop Header: Depth=1
	s_mul_u64 s[0:1], s[6:7], s[2:3]
	s_delay_alu instid0(SALU_CYCLE_1) | instskip(NEXT) | instid1(SALU_CYCLE_1)
	s_lshl_b64 s[0:1], s[0:1], 3
	s_add_nc_u64 s[0:1], s[4:5], s[0:1]
	s_load_b64 s[0:1], s[0:1], 0x0
	s_wait_kmcnt 0x0
	v_cmp_neq_f64_e64 s8, s[0:1], 0
	s_and_b32 s9, vcc_lo, s8
	s_delay_alu instid0(SALU_CYCLE_1)
	s_and_saveexec_b32 s8, s9
	s_cbranch_execz .LBB32_2
; %bb.4:                                ;   in Loop: Header=BB32_3 Depth=1
	s_mul_u64 s[10:11], s[16:17], s[2:3]
	s_mul_u64 s[14:15], s[12:13], s[2:3]
	v_lshl_add_u64 v[4:5], s[10:11], 3, v[2:3]
	v_lshl_add_u64 v[6:7], s[14:15], 3, v[0:1]
	global_load_b64 v[8:9], v[4:5], off
	global_load_b64 v[10:11], v[6:7], off
	s_wait_loadcnt 0x0
	v_fmac_f64_e32 v[8:9], s[0:1], v[10:11]
	global_store_b64 v[4:5], v[8:9], off
	s_branch .LBB32_2
.LBB32_5:
	s_endpgm
	.section	.rodata,"a",@progbits
	.p2align	6, 0x0
	.amdhsa_kernel _ZL19rocblas_axpy_kernelIiLi256EdPKdS1_PdEviT2_lT3_lT_lT4_lS5_li
		.amdhsa_group_segment_fixed_size 0
		.amdhsa_private_segment_fixed_size 0
		.amdhsa_kernarg_size 92
		.amdhsa_user_sgpr_count 2
		.amdhsa_user_sgpr_dispatch_ptr 0
		.amdhsa_user_sgpr_queue_ptr 0
		.amdhsa_user_sgpr_kernarg_segment_ptr 1
		.amdhsa_user_sgpr_dispatch_id 0
		.amdhsa_user_sgpr_kernarg_preload_length 0
		.amdhsa_user_sgpr_kernarg_preload_offset 0
		.amdhsa_user_sgpr_private_segment_size 0
		.amdhsa_wavefront_size32 1
		.amdhsa_uses_dynamic_stack 0
		.amdhsa_enable_private_segment 0
		.amdhsa_system_sgpr_workgroup_id_x 1
		.amdhsa_system_sgpr_workgroup_id_y 0
		.amdhsa_system_sgpr_workgroup_id_z 1
		.amdhsa_system_sgpr_workgroup_info 0
		.amdhsa_system_vgpr_workitem_id 0
		.amdhsa_next_free_vgpr 12
		.amdhsa_next_free_sgpr 26
		.amdhsa_named_barrier_count 0
		.amdhsa_reserve_vcc 1
		.amdhsa_float_round_mode_32 0
		.amdhsa_float_round_mode_16_64 0
		.amdhsa_float_denorm_mode_32 3
		.amdhsa_float_denorm_mode_16_64 3
		.amdhsa_fp16_overflow 0
		.amdhsa_memory_ordered 1
		.amdhsa_forward_progress 1
		.amdhsa_inst_pref_size 4
		.amdhsa_round_robin_scheduling 0
		.amdhsa_exception_fp_ieee_invalid_op 0
		.amdhsa_exception_fp_denorm_src 0
		.amdhsa_exception_fp_ieee_div_zero 0
		.amdhsa_exception_fp_ieee_overflow 0
		.amdhsa_exception_fp_ieee_underflow 0
		.amdhsa_exception_fp_ieee_inexact 0
		.amdhsa_exception_int_div_zero 0
	.end_amdhsa_kernel
	.section	.text._ZL19rocblas_axpy_kernelIiLi256EdPKdS1_PdEviT2_lT3_lT_lT4_lS5_li,"axG",@progbits,_ZL19rocblas_axpy_kernelIiLi256EdPKdS1_PdEviT2_lT3_lT_lT4_lS5_li,comdat
.Lfunc_end32:
	.size	_ZL19rocblas_axpy_kernelIiLi256EdPKdS1_PdEviT2_lT3_lT_lT4_lS5_li, .Lfunc_end32-_ZL19rocblas_axpy_kernelIiLi256EdPKdS1_PdEviT2_lT3_lT_lT4_lS5_li
                                        ; -- End function
	.set _ZL19rocblas_axpy_kernelIiLi256EdPKdS1_PdEviT2_lT3_lT_lT4_lS5_li.num_vgpr, 12
	.set _ZL19rocblas_axpy_kernelIiLi256EdPKdS1_PdEviT2_lT3_lT_lT4_lS5_li.num_agpr, 0
	.set _ZL19rocblas_axpy_kernelIiLi256EdPKdS1_PdEviT2_lT3_lT_lT4_lS5_li.numbered_sgpr, 26
	.set _ZL19rocblas_axpy_kernelIiLi256EdPKdS1_PdEviT2_lT3_lT_lT4_lS5_li.num_named_barrier, 0
	.set _ZL19rocblas_axpy_kernelIiLi256EdPKdS1_PdEviT2_lT3_lT_lT4_lS5_li.private_seg_size, 0
	.set _ZL19rocblas_axpy_kernelIiLi256EdPKdS1_PdEviT2_lT3_lT_lT4_lS5_li.uses_vcc, 1
	.set _ZL19rocblas_axpy_kernelIiLi256EdPKdS1_PdEviT2_lT3_lT_lT4_lS5_li.uses_flat_scratch, 0
	.set _ZL19rocblas_axpy_kernelIiLi256EdPKdS1_PdEviT2_lT3_lT_lT4_lS5_li.has_dyn_sized_stack, 0
	.set _ZL19rocblas_axpy_kernelIiLi256EdPKdS1_PdEviT2_lT3_lT_lT4_lS5_li.has_recursion, 0
	.set _ZL19rocblas_axpy_kernelIiLi256EdPKdS1_PdEviT2_lT3_lT_lT4_lS5_li.has_indirect_call, 0
	.section	.AMDGPU.csdata,"",@progbits
; Kernel info:
; codeLenInByte = 400
; TotalNumSgprs: 28
; NumVgprs: 12
; ScratchSize: 0
; MemoryBound: 0
; FloatMode: 240
; IeeeMode: 1
; LDSByteSize: 0 bytes/workgroup (compile time only)
; SGPRBlocks: 0
; VGPRBlocks: 0
; NumSGPRsForWavesPerEU: 28
; NumVGPRsForWavesPerEU: 12
; NamedBarCnt: 0
; Occupancy: 16
; WaveLimiterHint : 0
; COMPUTE_PGM_RSRC2:SCRATCH_EN: 0
; COMPUTE_PGM_RSRC2:USER_SGPR: 2
; COMPUTE_PGM_RSRC2:TRAP_HANDLER: 0
; COMPUTE_PGM_RSRC2:TGID_X_EN: 1
; COMPUTE_PGM_RSRC2:TGID_Y_EN: 0
; COMPUTE_PGM_RSRC2:TGID_Z_EN: 1
; COMPUTE_PGM_RSRC2:TIDIG_COMP_CNT: 0
	.section	.text._ZL19rocblas_axpy_kernelIiLi256EddPKdPdEviT2_lT3_lT_lT4_lS5_li,"axG",@progbits,_ZL19rocblas_axpy_kernelIiLi256EddPKdPdEviT2_lT3_lT_lT4_lS5_li,comdat
	.globl	_ZL19rocblas_axpy_kernelIiLi256EddPKdPdEviT2_lT3_lT_lT4_lS5_li ; -- Begin function _ZL19rocblas_axpy_kernelIiLi256EddPKdPdEviT2_lT3_lT_lT4_lS5_li
	.p2align	8
	.type	_ZL19rocblas_axpy_kernelIiLi256EddPKdPdEviT2_lT3_lT_lT4_lS5_li,@function
_ZL19rocblas_axpy_kernelIiLi256EddPKdPdEviT2_lT3_lT_lT4_lS5_li: ; @_ZL19rocblas_axpy_kernelIiLi256EddPKdPdEviT2_lT3_lT_lT4_lS5_li
; %bb.0:
	s_load_b32 s12, s[0:1], 0x58
	s_bfe_u32 s2, ttmp6, 0x40014
	s_lshr_b32 s3, ttmp7, 16
	s_add_co_i32 s2, s2, 1
	s_bfe_u32 s5, ttmp6, 0x40008
	s_mul_i32 s2, s3, s2
	s_getreg_b32 s4, hwreg(HW_REG_IB_STS2, 6, 4)
	s_add_co_i32 s5, s5, s2
	s_cmp_eq_u32 s4, 0
	s_cselect_b32 s2, s3, s5
	s_mov_b32 s3, 0
	s_wait_kmcnt 0x0
	s_cmp_ge_u32 s2, s12
	s_cbranch_scc1 .LBB33_5
; %bb.1:
	s_clause 0x4
	s_load_b32 s14, s[0:1], 0x0
	s_load_b32 s6, s[0:1], 0x28
	s_load_b96 s[20:22], s[0:1], 0x40
	s_load_b128 s[16:19], s[0:1], 0x18
	s_load_b64 s[8:9], s[0:1], 0x8
	s_bfe_u32 s5, ttmp6, 0x4000c
	s_and_b32 s7, ttmp6, 15
	s_add_co_i32 s5, s5, 1
	v_mov_b32_e32 v1, 0
	s_mul_i32 s5, ttmp9, s5
	s_delay_alu instid0(SALU_CYCLE_1)
	s_add_co_i32 s10, s7, s5
	s_wait_kmcnt 0x0
	s_ashr_i32 s15, s14, 31
	s_ashr_i32 s7, s6, 31
	;; [unrolled: 1-line block ×3, first 2 shown]
	s_lshl_b64 s[20:21], s[20:21], 3
	s_lshl_b64 s[18:19], s[18:19], 3
	s_cmp_eq_u32 s4, 0
	v_cmp_neq_f64_e64 s13, s[8:9], 0
	s_cselect_b32 s4, ttmp9, s10
	s_delay_alu instid0(SALU_CYCLE_1) | instskip(SKIP_1) | instid1(VALU_DEP_1)
	v_lshl_or_b32 v0, s4, 8, v0
	s_mov_b32 s4, s22
	v_mul_u64_e32 v[2:3], s[6:7], v[0:1]
	v_mul_u64_e32 v[4:5], s[4:5], v[0:1]
	s_clause 0x1
	s_load_b128 s[4:7], s[0:1], 0x30
	s_load_b64 s[10:11], s[0:1], 0x50
	v_cmp_gt_i64_e32 vcc_lo, s[14:15], v[0:1]
	s_wait_xcnt 0x0
	s_add_nc_u64 s[0:1], s[16:17], s[18:19]
	s_wait_kmcnt 0x0
	s_add_nc_u64 s[6:7], s[6:7], s[20:21]
	s_delay_alu instid0(VALU_DEP_3) | instskip(NEXT) | instid1(VALU_DEP_3)
	v_lshl_add_u64 v[0:1], v[2:3], 3, s[0:1]
	v_lshl_add_u64 v[2:3], v[4:5], 3, s[6:7]
	s_and_b32 s0, s13, vcc_lo
	s_branch .LBB33_3
.LBB33_2:                               ;   in Loop: Header=BB33_3 Depth=1
	s_wait_xcnt 0x0
	s_or_b32 exec_lo, exec_lo, s1
	s_add_co_i32 s2, s2, 0x10000
	s_delay_alu instid0(SALU_CYCLE_1)
	s_cmp_lt_u32 s2, s12
	s_cbranch_scc0 .LBB33_5
.LBB33_3:                               ; =>This Inner Loop Header: Depth=1
	s_and_saveexec_b32 s1, s0
	s_cbranch_execz .LBB33_2
; %bb.4:                                ;   in Loop: Header=BB33_3 Depth=1
	s_mul_u64 s[6:7], s[10:11], s[2:3]
	s_mul_u64 s[14:15], s[4:5], s[2:3]
	v_lshl_add_u64 v[4:5], s[6:7], 3, v[2:3]
	v_lshl_add_u64 v[6:7], s[14:15], 3, v[0:1]
	global_load_b64 v[8:9], v[4:5], off
	global_load_b64 v[10:11], v[6:7], off
	s_wait_loadcnt 0x0
	v_fmac_f64_e32 v[8:9], s[8:9], v[10:11]
	global_store_b64 v[4:5], v[8:9], off
	s_branch .LBB33_2
.LBB33_5:
	s_endpgm
	.section	.rodata,"a",@progbits
	.p2align	6, 0x0
	.amdhsa_kernel _ZL19rocblas_axpy_kernelIiLi256EddPKdPdEviT2_lT3_lT_lT4_lS5_li
		.amdhsa_group_segment_fixed_size 0
		.amdhsa_private_segment_fixed_size 0
		.amdhsa_kernarg_size 92
		.amdhsa_user_sgpr_count 2
		.amdhsa_user_sgpr_dispatch_ptr 0
		.amdhsa_user_sgpr_queue_ptr 0
		.amdhsa_user_sgpr_kernarg_segment_ptr 1
		.amdhsa_user_sgpr_dispatch_id 0
		.amdhsa_user_sgpr_kernarg_preload_length 0
		.amdhsa_user_sgpr_kernarg_preload_offset 0
		.amdhsa_user_sgpr_private_segment_size 0
		.amdhsa_wavefront_size32 1
		.amdhsa_uses_dynamic_stack 0
		.amdhsa_enable_private_segment 0
		.amdhsa_system_sgpr_workgroup_id_x 1
		.amdhsa_system_sgpr_workgroup_id_y 0
		.amdhsa_system_sgpr_workgroup_id_z 1
		.amdhsa_system_sgpr_workgroup_info 0
		.amdhsa_system_vgpr_workitem_id 0
		.amdhsa_next_free_vgpr 12
		.amdhsa_next_free_sgpr 23
		.amdhsa_named_barrier_count 0
		.amdhsa_reserve_vcc 1
		.amdhsa_float_round_mode_32 0
		.amdhsa_float_round_mode_16_64 0
		.amdhsa_float_denorm_mode_32 3
		.amdhsa_float_denorm_mode_16_64 3
		.amdhsa_fp16_overflow 0
		.amdhsa_memory_ordered 1
		.amdhsa_forward_progress 1
		.amdhsa_inst_pref_size 4
		.amdhsa_round_robin_scheduling 0
		.amdhsa_exception_fp_ieee_invalid_op 0
		.amdhsa_exception_fp_denorm_src 0
		.amdhsa_exception_fp_ieee_div_zero 0
		.amdhsa_exception_fp_ieee_overflow 0
		.amdhsa_exception_fp_ieee_underflow 0
		.amdhsa_exception_fp_ieee_inexact 0
		.amdhsa_exception_int_div_zero 0
	.end_amdhsa_kernel
	.section	.text._ZL19rocblas_axpy_kernelIiLi256EddPKdPdEviT2_lT3_lT_lT4_lS5_li,"axG",@progbits,_ZL19rocblas_axpy_kernelIiLi256EddPKdPdEviT2_lT3_lT_lT4_lS5_li,comdat
.Lfunc_end33:
	.size	_ZL19rocblas_axpy_kernelIiLi256EddPKdPdEviT2_lT3_lT_lT4_lS5_li, .Lfunc_end33-_ZL19rocblas_axpy_kernelIiLi256EddPKdPdEviT2_lT3_lT_lT4_lS5_li
                                        ; -- End function
	.set _ZL19rocblas_axpy_kernelIiLi256EddPKdPdEviT2_lT3_lT_lT4_lS5_li.num_vgpr, 12
	.set _ZL19rocblas_axpy_kernelIiLi256EddPKdPdEviT2_lT3_lT_lT4_lS5_li.num_agpr, 0
	.set _ZL19rocblas_axpy_kernelIiLi256EddPKdPdEviT2_lT3_lT_lT4_lS5_li.numbered_sgpr, 23
	.set _ZL19rocblas_axpy_kernelIiLi256EddPKdPdEviT2_lT3_lT_lT4_lS5_li.num_named_barrier, 0
	.set _ZL19rocblas_axpy_kernelIiLi256EddPKdPdEviT2_lT3_lT_lT4_lS5_li.private_seg_size, 0
	.set _ZL19rocblas_axpy_kernelIiLi256EddPKdPdEviT2_lT3_lT_lT4_lS5_li.uses_vcc, 1
	.set _ZL19rocblas_axpy_kernelIiLi256EddPKdPdEviT2_lT3_lT_lT4_lS5_li.uses_flat_scratch, 0
	.set _ZL19rocblas_axpy_kernelIiLi256EddPKdPdEviT2_lT3_lT_lT4_lS5_li.has_dyn_sized_stack, 0
	.set _ZL19rocblas_axpy_kernelIiLi256EddPKdPdEviT2_lT3_lT_lT4_lS5_li.has_recursion, 0
	.set _ZL19rocblas_axpy_kernelIiLi256EddPKdPdEviT2_lT3_lT_lT4_lS5_li.has_indirect_call, 0
	.section	.AMDGPU.csdata,"",@progbits
; Kernel info:
; codeLenInByte = 388
; TotalNumSgprs: 25
; NumVgprs: 12
; ScratchSize: 0
; MemoryBound: 0
; FloatMode: 240
; IeeeMode: 1
; LDSByteSize: 0 bytes/workgroup (compile time only)
; SGPRBlocks: 0
; VGPRBlocks: 0
; NumSGPRsForWavesPerEU: 25
; NumVGPRsForWavesPerEU: 12
; NamedBarCnt: 0
; Occupancy: 16
; WaveLimiterHint : 0
; COMPUTE_PGM_RSRC2:SCRATCH_EN: 0
; COMPUTE_PGM_RSRC2:USER_SGPR: 2
; COMPUTE_PGM_RSRC2:TRAP_HANDLER: 0
; COMPUTE_PGM_RSRC2:TGID_X_EN: 1
; COMPUTE_PGM_RSRC2:TGID_Y_EN: 0
; COMPUTE_PGM_RSRC2:TGID_Z_EN: 1
; COMPUTE_PGM_RSRC2:TIDIG_COMP_CNT: 0
	.section	.text._ZL19rocblas_axpy_kernelIlLi256EdPKdS1_PdEviT2_lT3_lT_lT4_lS5_li,"axG",@progbits,_ZL19rocblas_axpy_kernelIlLi256EdPKdS1_PdEviT2_lT3_lT_lT4_lS5_li,comdat
	.globl	_ZL19rocblas_axpy_kernelIlLi256EdPKdS1_PdEviT2_lT3_lT_lT4_lS5_li ; -- Begin function _ZL19rocblas_axpy_kernelIlLi256EdPKdS1_PdEviT2_lT3_lT_lT4_lS5_li
	.p2align	8
	.type	_ZL19rocblas_axpy_kernelIlLi256EdPKdS1_PdEviT2_lT3_lT_lT4_lS5_li,@function
_ZL19rocblas_axpy_kernelIlLi256EdPKdS1_PdEviT2_lT3_lT_lT4_lS5_li: ; @_ZL19rocblas_axpy_kernelIlLi256EdPKdS1_PdEviT2_lT3_lT_lT4_lS5_li
; %bb.0:
	s_load_b32 s16, s[0:1], 0x58
	s_bfe_u32 s2, ttmp6, 0x40014
	s_lshr_b32 s3, ttmp7, 16
	s_add_co_i32 s2, s2, 1
	s_bfe_u32 s4, ttmp6, 0x40008
	s_mul_i32 s2, s3, s2
	s_getreg_b32 s17, hwreg(HW_REG_IB_STS2, 6, 4)
	s_add_co_i32 s4, s4, s2
	s_cmp_eq_u32 s17, 0
	s_cselect_b32 s2, s3, s4
	s_mov_b32 s3, 0
	s_wait_kmcnt 0x0
	s_cmp_ge_u32 s2, s16
	s_cbranch_scc1 .LBB34_5
; %bb.1:
	s_clause 0x2
	s_load_b32 s18, s[0:1], 0x0
	s_load_b256 s[4:11], s[0:1], 0x30
	s_load_b128 s[20:23], s[0:1], 0x20
	s_bfe_u32 s12, ttmp6, 0x4000c
	s_and_b32 s19, ttmp6, 15
	s_add_co_i32 s12, s12, 1
	v_mov_b32_e32 v1, 0
	s_mul_i32 s24, ttmp9, s12
	s_load_b128 s[12:15], s[0:1], 0x8
	s_add_co_i32 s26, s19, s24
	s_wait_kmcnt 0x0
	s_ashr_i32 s19, s18, 31
	s_lshl_b64 s[24:25], s[8:9], 3
	s_lshl_b64 s[20:21], s[20:21], 3
	s_cmp_eq_u32 s17, 0
	s_cselect_b32 s8, ttmp9, s26
	s_delay_alu instid0(SALU_CYCLE_1) | instskip(NEXT) | instid1(VALU_DEP_1)
	v_lshl_or_b32 v0, s8, 8, v0
	v_mul_u64_e32 v[2:3], s[22:23], v[0:1]
	v_mul_u64_e32 v[4:5], s[10:11], v[0:1]
	s_clause 0x1
	s_load_b64 s[10:11], s[0:1], 0x18
	s_load_b64 s[8:9], s[0:1], 0x50
	s_wait_xcnt 0x0
	s_add_nc_u64 s[0:1], s[6:7], s[24:25]
	v_cmp_gt_i64_e32 vcc_lo, s[18:19], v[0:1]
	s_wait_kmcnt 0x0
	s_add_nc_u64 s[6:7], s[10:11], s[20:21]
	s_delay_alu instid0(VALU_DEP_3) | instid1(SALU_CYCLE_1)
	v_lshl_add_u64 v[0:1], v[2:3], 3, s[6:7]
	s_delay_alu instid0(VALU_DEP_3)
	v_lshl_add_u64 v[2:3], v[4:5], 3, s[0:1]
	s_branch .LBB34_3
.LBB34_2:                               ;   in Loop: Header=BB34_3 Depth=1
	s_wait_xcnt 0x0
	s_or_b32 exec_lo, exec_lo, s6
	s_add_co_i32 s2, s2, 0x10000
	s_delay_alu instid0(SALU_CYCLE_1)
	s_cmp_lt_u32 s2, s16
	s_cbranch_scc0 .LBB34_5
.LBB34_3:                               ; =>This Inner Loop Header: Depth=1
	s_mul_u64 s[0:1], s[14:15], s[2:3]
	s_delay_alu instid0(SALU_CYCLE_1) | instskip(NEXT) | instid1(SALU_CYCLE_1)
	s_lshl_b64 s[0:1], s[0:1], 3
	s_add_nc_u64 s[0:1], s[12:13], s[0:1]
	s_load_b64 s[0:1], s[0:1], 0x0
	s_wait_kmcnt 0x0
	v_cmp_neq_f64_e64 s6, s[0:1], 0
	s_and_b32 s7, vcc_lo, s6
	s_delay_alu instid0(SALU_CYCLE_1)
	s_and_saveexec_b32 s6, s7
	s_cbranch_execz .LBB34_2
; %bb.4:                                ;   in Loop: Header=BB34_3 Depth=1
	s_mul_u64 s[10:11], s[8:9], s[2:3]
	s_mul_u64 s[18:19], s[4:5], s[2:3]
	v_lshl_add_u64 v[4:5], s[10:11], 3, v[2:3]
	v_lshl_add_u64 v[6:7], s[18:19], 3, v[0:1]
	global_load_b64 v[8:9], v[4:5], off
	global_load_b64 v[10:11], v[6:7], off
	s_wait_loadcnt 0x0
	v_fmac_f64_e32 v[8:9], s[0:1], v[10:11]
	global_store_b64 v[4:5], v[8:9], off
	s_branch .LBB34_2
.LBB34_5:
	s_endpgm
	.section	.rodata,"a",@progbits
	.p2align	6, 0x0
	.amdhsa_kernel _ZL19rocblas_axpy_kernelIlLi256EdPKdS1_PdEviT2_lT3_lT_lT4_lS5_li
		.amdhsa_group_segment_fixed_size 0
		.amdhsa_private_segment_fixed_size 0
		.amdhsa_kernarg_size 92
		.amdhsa_user_sgpr_count 2
		.amdhsa_user_sgpr_dispatch_ptr 0
		.amdhsa_user_sgpr_queue_ptr 0
		.amdhsa_user_sgpr_kernarg_segment_ptr 1
		.amdhsa_user_sgpr_dispatch_id 0
		.amdhsa_user_sgpr_kernarg_preload_length 0
		.amdhsa_user_sgpr_kernarg_preload_offset 0
		.amdhsa_user_sgpr_private_segment_size 0
		.amdhsa_wavefront_size32 1
		.amdhsa_uses_dynamic_stack 0
		.amdhsa_enable_private_segment 0
		.amdhsa_system_sgpr_workgroup_id_x 1
		.amdhsa_system_sgpr_workgroup_id_y 0
		.amdhsa_system_sgpr_workgroup_id_z 1
		.amdhsa_system_sgpr_workgroup_info 0
		.amdhsa_system_vgpr_workitem_id 0
		.amdhsa_next_free_vgpr 12
		.amdhsa_next_free_sgpr 27
		.amdhsa_named_barrier_count 0
		.amdhsa_reserve_vcc 1
		.amdhsa_float_round_mode_32 0
		.amdhsa_float_round_mode_16_64 0
		.amdhsa_float_denorm_mode_32 3
		.amdhsa_float_denorm_mode_16_64 3
		.amdhsa_fp16_overflow 0
		.amdhsa_memory_ordered 1
		.amdhsa_forward_progress 1
		.amdhsa_inst_pref_size 4
		.amdhsa_round_robin_scheduling 0
		.amdhsa_exception_fp_ieee_invalid_op 0
		.amdhsa_exception_fp_denorm_src 0
		.amdhsa_exception_fp_ieee_div_zero 0
		.amdhsa_exception_fp_ieee_overflow 0
		.amdhsa_exception_fp_ieee_underflow 0
		.amdhsa_exception_fp_ieee_inexact 0
		.amdhsa_exception_int_div_zero 0
	.end_amdhsa_kernel
	.section	.text._ZL19rocblas_axpy_kernelIlLi256EdPKdS1_PdEviT2_lT3_lT_lT4_lS5_li,"axG",@progbits,_ZL19rocblas_axpy_kernelIlLi256EdPKdS1_PdEviT2_lT3_lT_lT4_lS5_li,comdat
.Lfunc_end34:
	.size	_ZL19rocblas_axpy_kernelIlLi256EdPKdS1_PdEviT2_lT3_lT_lT4_lS5_li, .Lfunc_end34-_ZL19rocblas_axpy_kernelIlLi256EdPKdS1_PdEviT2_lT3_lT_lT4_lS5_li
                                        ; -- End function
	.set _ZL19rocblas_axpy_kernelIlLi256EdPKdS1_PdEviT2_lT3_lT_lT4_lS5_li.num_vgpr, 12
	.set _ZL19rocblas_axpy_kernelIlLi256EdPKdS1_PdEviT2_lT3_lT_lT4_lS5_li.num_agpr, 0
	.set _ZL19rocblas_axpy_kernelIlLi256EdPKdS1_PdEviT2_lT3_lT_lT4_lS5_li.numbered_sgpr, 27
	.set _ZL19rocblas_axpy_kernelIlLi256EdPKdS1_PdEviT2_lT3_lT_lT4_lS5_li.num_named_barrier, 0
	.set _ZL19rocblas_axpy_kernelIlLi256EdPKdS1_PdEviT2_lT3_lT_lT4_lS5_li.private_seg_size, 0
	.set _ZL19rocblas_axpy_kernelIlLi256EdPKdS1_PdEviT2_lT3_lT_lT4_lS5_li.uses_vcc, 1
	.set _ZL19rocblas_axpy_kernelIlLi256EdPKdS1_PdEviT2_lT3_lT_lT4_lS5_li.uses_flat_scratch, 0
	.set _ZL19rocblas_axpy_kernelIlLi256EdPKdS1_PdEviT2_lT3_lT_lT4_lS5_li.has_dyn_sized_stack, 0
	.set _ZL19rocblas_axpy_kernelIlLi256EdPKdS1_PdEviT2_lT3_lT_lT4_lS5_li.has_recursion, 0
	.set _ZL19rocblas_axpy_kernelIlLi256EdPKdS1_PdEviT2_lT3_lT_lT4_lS5_li.has_indirect_call, 0
	.section	.AMDGPU.csdata,"",@progbits
; Kernel info:
; codeLenInByte = 400
; TotalNumSgprs: 29
; NumVgprs: 12
; ScratchSize: 0
; MemoryBound: 0
; FloatMode: 240
; IeeeMode: 1
; LDSByteSize: 0 bytes/workgroup (compile time only)
; SGPRBlocks: 0
; VGPRBlocks: 0
; NumSGPRsForWavesPerEU: 29
; NumVGPRsForWavesPerEU: 12
; NamedBarCnt: 0
; Occupancy: 16
; WaveLimiterHint : 0
; COMPUTE_PGM_RSRC2:SCRATCH_EN: 0
; COMPUTE_PGM_RSRC2:USER_SGPR: 2
; COMPUTE_PGM_RSRC2:TRAP_HANDLER: 0
; COMPUTE_PGM_RSRC2:TGID_X_EN: 1
; COMPUTE_PGM_RSRC2:TGID_Y_EN: 0
; COMPUTE_PGM_RSRC2:TGID_Z_EN: 1
; COMPUTE_PGM_RSRC2:TIDIG_COMP_CNT: 0
	.section	.text._ZL19rocblas_axpy_kernelIlLi256EddPKdPdEviT2_lT3_lT_lT4_lS5_li,"axG",@progbits,_ZL19rocblas_axpy_kernelIlLi256EddPKdPdEviT2_lT3_lT_lT4_lS5_li,comdat
	.globl	_ZL19rocblas_axpy_kernelIlLi256EddPKdPdEviT2_lT3_lT_lT4_lS5_li ; -- Begin function _ZL19rocblas_axpy_kernelIlLi256EddPKdPdEviT2_lT3_lT_lT4_lS5_li
	.p2align	8
	.type	_ZL19rocblas_axpy_kernelIlLi256EddPKdPdEviT2_lT3_lT_lT4_lS5_li,@function
_ZL19rocblas_axpy_kernelIlLi256EddPKdPdEviT2_lT3_lT_lT4_lS5_li: ; @_ZL19rocblas_axpy_kernelIlLi256EddPKdPdEviT2_lT3_lT_lT4_lS5_li
; %bb.0:
	s_load_b32 s14, s[0:1], 0x58
	s_bfe_u32 s2, ttmp6, 0x40014
	s_lshr_b32 s3, ttmp7, 16
	s_add_co_i32 s2, s2, 1
	s_bfe_u32 s4, ttmp6, 0x40008
	s_mul_i32 s2, s3, s2
	s_getreg_b32 s15, hwreg(HW_REG_IB_STS2, 6, 4)
	s_add_co_i32 s4, s4, s2
	s_cmp_eq_u32 s15, 0
	s_cselect_b32 s2, s3, s4
	s_mov_b32 s3, 0
	s_wait_kmcnt 0x0
	s_cmp_ge_u32 s2, s14
	s_cbranch_scc1 .LBB35_5
; %bb.1:
	s_clause 0x3
	s_load_b32 s20, s[0:1], 0x0
	s_load_b256 s[4:11], s[0:1], 0x30
	s_load_b128 s[16:19], s[0:1], 0x20
	s_load_b64 s[12:13], s[0:1], 0x8
	s_bfe_u32 s21, ttmp6, 0x4000c
	s_and_b32 s22, ttmp6, 15
	s_add_co_i32 s21, s21, 1
	v_mov_b32_e32 v1, 0
	s_mul_i32 s21, ttmp9, s21
	s_delay_alu instid0(SALU_CYCLE_1)
	s_add_co_i32 s24, s22, s21
	s_wait_kmcnt 0x0
	s_ashr_i32 s21, s20, 31
	s_lshl_b64 s[22:23], s[8:9], 3
	s_lshl_b64 s[16:17], s[16:17], 3
	s_cmp_eq_u32 s15, 0
	v_cmp_neq_f64_e64 s15, s[12:13], 0
	s_cselect_b32 s8, ttmp9, s24
	s_add_nc_u64 s[6:7], s[6:7], s[22:23]
	v_lshl_or_b32 v0, s8, 8, v0
	s_delay_alu instid0(VALU_DEP_1)
	v_mul_u64_e32 v[2:3], s[18:19], v[0:1]
	v_mul_u64_e32 v[4:5], s[10:11], v[0:1]
	s_clause 0x1
	s_load_b64 s[10:11], s[0:1], 0x18
	s_load_b64 s[8:9], s[0:1], 0x50
	v_cmp_gt_i64_e32 vcc_lo, s[20:21], v[0:1]
	s_wait_kmcnt 0x0
	s_add_nc_u64 s[0:1], s[10:11], s[16:17]
	s_delay_alu instid0(VALU_DEP_3) | instid1(SALU_CYCLE_1)
	v_lshl_add_u64 v[0:1], v[2:3], 3, s[0:1]
	s_delay_alu instid0(VALU_DEP_3)
	v_lshl_add_u64 v[2:3], v[4:5], 3, s[6:7]
	s_and_b32 s0, s15, vcc_lo
	s_branch .LBB35_3
.LBB35_2:                               ;   in Loop: Header=BB35_3 Depth=1
	s_wait_xcnt 0x0
	s_or_b32 exec_lo, exec_lo, s1
	s_add_co_i32 s2, s2, 0x10000
	s_delay_alu instid0(SALU_CYCLE_1)
	s_cmp_lt_u32 s2, s14
	s_cbranch_scc0 .LBB35_5
.LBB35_3:                               ; =>This Inner Loop Header: Depth=1
	s_and_saveexec_b32 s1, s0
	s_cbranch_execz .LBB35_2
; %bb.4:                                ;   in Loop: Header=BB35_3 Depth=1
	s_mul_u64 s[6:7], s[8:9], s[2:3]
	s_mul_u64 s[10:11], s[4:5], s[2:3]
	v_lshl_add_u64 v[4:5], s[6:7], 3, v[2:3]
	v_lshl_add_u64 v[6:7], s[10:11], 3, v[0:1]
	global_load_b64 v[8:9], v[4:5], off
	global_load_b64 v[10:11], v[6:7], off
	s_wait_loadcnt 0x0
	v_fmac_f64_e32 v[8:9], s[12:13], v[10:11]
	global_store_b64 v[4:5], v[8:9], off
	s_branch .LBB35_2
.LBB35_5:
	s_endpgm
	.section	.rodata,"a",@progbits
	.p2align	6, 0x0
	.amdhsa_kernel _ZL19rocblas_axpy_kernelIlLi256EddPKdPdEviT2_lT3_lT_lT4_lS5_li
		.amdhsa_group_segment_fixed_size 0
		.amdhsa_private_segment_fixed_size 0
		.amdhsa_kernarg_size 92
		.amdhsa_user_sgpr_count 2
		.amdhsa_user_sgpr_dispatch_ptr 0
		.amdhsa_user_sgpr_queue_ptr 0
		.amdhsa_user_sgpr_kernarg_segment_ptr 1
		.amdhsa_user_sgpr_dispatch_id 0
		.amdhsa_user_sgpr_kernarg_preload_length 0
		.amdhsa_user_sgpr_kernarg_preload_offset 0
		.amdhsa_user_sgpr_private_segment_size 0
		.amdhsa_wavefront_size32 1
		.amdhsa_uses_dynamic_stack 0
		.amdhsa_enable_private_segment 0
		.amdhsa_system_sgpr_workgroup_id_x 1
		.amdhsa_system_sgpr_workgroup_id_y 0
		.amdhsa_system_sgpr_workgroup_id_z 1
		.amdhsa_system_sgpr_workgroup_info 0
		.amdhsa_system_vgpr_workitem_id 0
		.amdhsa_next_free_vgpr 12
		.amdhsa_next_free_sgpr 25
		.amdhsa_named_barrier_count 0
		.amdhsa_reserve_vcc 1
		.amdhsa_float_round_mode_32 0
		.amdhsa_float_round_mode_16_64 0
		.amdhsa_float_denorm_mode_32 3
		.amdhsa_float_denorm_mode_16_64 3
		.amdhsa_fp16_overflow 0
		.amdhsa_memory_ordered 1
		.amdhsa_forward_progress 1
		.amdhsa_inst_pref_size 3
		.amdhsa_round_robin_scheduling 0
		.amdhsa_exception_fp_ieee_invalid_op 0
		.amdhsa_exception_fp_denorm_src 0
		.amdhsa_exception_fp_ieee_div_zero 0
		.amdhsa_exception_fp_ieee_overflow 0
		.amdhsa_exception_fp_ieee_underflow 0
		.amdhsa_exception_fp_ieee_inexact 0
		.amdhsa_exception_int_div_zero 0
	.end_amdhsa_kernel
	.section	.text._ZL19rocblas_axpy_kernelIlLi256EddPKdPdEviT2_lT3_lT_lT4_lS5_li,"axG",@progbits,_ZL19rocblas_axpy_kernelIlLi256EddPKdPdEviT2_lT3_lT_lT4_lS5_li,comdat
.Lfunc_end35:
	.size	_ZL19rocblas_axpy_kernelIlLi256EddPKdPdEviT2_lT3_lT_lT4_lS5_li, .Lfunc_end35-_ZL19rocblas_axpy_kernelIlLi256EddPKdPdEviT2_lT3_lT_lT4_lS5_li
                                        ; -- End function
	.set _ZL19rocblas_axpy_kernelIlLi256EddPKdPdEviT2_lT3_lT_lT4_lS5_li.num_vgpr, 12
	.set _ZL19rocblas_axpy_kernelIlLi256EddPKdPdEviT2_lT3_lT_lT4_lS5_li.num_agpr, 0
	.set _ZL19rocblas_axpy_kernelIlLi256EddPKdPdEviT2_lT3_lT_lT4_lS5_li.numbered_sgpr, 25
	.set _ZL19rocblas_axpy_kernelIlLi256EddPKdPdEviT2_lT3_lT_lT4_lS5_li.num_named_barrier, 0
	.set _ZL19rocblas_axpy_kernelIlLi256EddPKdPdEviT2_lT3_lT_lT4_lS5_li.private_seg_size, 0
	.set _ZL19rocblas_axpy_kernelIlLi256EddPKdPdEviT2_lT3_lT_lT4_lS5_li.uses_vcc, 1
	.set _ZL19rocblas_axpy_kernelIlLi256EddPKdPdEviT2_lT3_lT_lT4_lS5_li.uses_flat_scratch, 0
	.set _ZL19rocblas_axpy_kernelIlLi256EddPKdPdEviT2_lT3_lT_lT4_lS5_li.has_dyn_sized_stack, 0
	.set _ZL19rocblas_axpy_kernelIlLi256EddPKdPdEviT2_lT3_lT_lT4_lS5_li.has_recursion, 0
	.set _ZL19rocblas_axpy_kernelIlLi256EddPKdPdEviT2_lT3_lT_lT4_lS5_li.has_indirect_call, 0
	.section	.AMDGPU.csdata,"",@progbits
; Kernel info:
; codeLenInByte = 368
; TotalNumSgprs: 27
; NumVgprs: 12
; ScratchSize: 0
; MemoryBound: 0
; FloatMode: 240
; IeeeMode: 1
; LDSByteSize: 0 bytes/workgroup (compile time only)
; SGPRBlocks: 0
; VGPRBlocks: 0
; NumSGPRsForWavesPerEU: 27
; NumVGPRsForWavesPerEU: 12
; NamedBarCnt: 0
; Occupancy: 16
; WaveLimiterHint : 0
; COMPUTE_PGM_RSRC2:SCRATCH_EN: 0
; COMPUTE_PGM_RSRC2:USER_SGPR: 2
; COMPUTE_PGM_RSRC2:TRAP_HANDLER: 0
; COMPUTE_PGM_RSRC2:TGID_X_EN: 1
; COMPUTE_PGM_RSRC2:TGID_Y_EN: 0
; COMPUTE_PGM_RSRC2:TGID_Z_EN: 1
; COMPUTE_PGM_RSRC2:TIDIG_COMP_CNT: 0
	.section	.text._ZL26rocblas_haxpy_mlt_8_kernelILi256EPKDF16_PK19rocblas_complex_numIfEPS3_EviT0_lT1_llT2_lli,"axG",@progbits,_ZL26rocblas_haxpy_mlt_8_kernelILi256EPKDF16_PK19rocblas_complex_numIfEPS3_EviT0_lT1_llT2_lli,comdat
	.globl	_ZL26rocblas_haxpy_mlt_8_kernelILi256EPKDF16_PK19rocblas_complex_numIfEPS3_EviT0_lT1_llT2_lli ; -- Begin function _ZL26rocblas_haxpy_mlt_8_kernelILi256EPKDF16_PK19rocblas_complex_numIfEPS3_EviT0_lT1_llT2_lli
	.p2align	8
	.type	_ZL26rocblas_haxpy_mlt_8_kernelILi256EPKDF16_PK19rocblas_complex_numIfEPS3_EviT0_lT1_llT2_lli,@function
_ZL26rocblas_haxpy_mlt_8_kernelILi256EPKDF16_PK19rocblas_complex_numIfEPS3_EviT0_lT1_llT2_lli: ; @_ZL26rocblas_haxpy_mlt_8_kernelILi256EPKDF16_PK19rocblas_complex_numIfEPS3_EviT0_lT1_llT2_lli
; %bb.0:
	s_load_b32 s20, s[0:1], 0x48
	s_bfe_u32 s2, ttmp6, 0x40014
	s_lshr_b32 s3, ttmp7, 16
	s_add_co_i32 s2, s2, 1
	s_bfe_u32 s4, ttmp6, 0x40008
	s_mul_i32 s2, s3, s2
	s_getreg_b32 s21, hwreg(HW_REG_IB_STS2, 6, 4)
	s_add_co_i32 s4, s4, s2
	s_cmp_eq_u32 s21, 0
	s_cselect_b32 s2, s3, s4
	s_mov_b32 s3, 0
	s_wait_kmcnt 0x0
	s_cmp_ge_u32 s2, s20
	s_cbranch_scc1 .LBB36_5
; %bb.1:
	s_clause 0x1
	s_load_b32 s22, s[0:1], 0x0
	s_load_b512 s[4:19], s[0:1], 0x8
	s_wait_xcnt 0x0
	s_bfe_u32 s0, ttmp6, 0x4000c
	s_and_b32 s1, ttmp6, 15
	s_add_co_i32 s0, s0, 1
	v_mov_b32_e32 v1, 0
	s_mul_i32 s0, ttmp9, s0
	s_delay_alu instid0(SALU_CYCLE_1)
	s_add_co_i32 s24, s1, s0
	s_wait_kmcnt 0x0
	s_ashr_i32 s23, s22, 31
	s_lshl_b64 s[0:1], s[16:17], 3
	s_lshl_b64 s[10:11], s[10:11], 3
	s_cmp_eq_u32 s21, 0
	s_add_nc_u64 s[0:1], s[14:15], s[0:1]
	s_cselect_b32 s16, ttmp9, s24
	s_add_nc_u64 s[8:9], s[8:9], s[10:11]
	v_lshl_or_b32 v0, s16, 8, v0
	s_delay_alu instid0(VALU_DEP_1) | instskip(SKIP_1) | instid1(VALU_DEP_2)
	v_lshlrev_b64_e32 v[2:3], 3, v[0:1]
	v_lshlrev_b64_e32 v[4:5], 6, v[0:1]
	v_cmp_le_i64_e32 vcc_lo, s[22:23], v[2:3]
	s_delay_alu instid0(VALU_DEP_2)
	v_add_nc_u64_e32 v[2:3], s[8:9], v[4:5]
	v_add_nc_u64_e32 v[4:5], s[0:1], v[4:5]
	s_xor_b32 s0, vcc_lo, -1
	s_branch .LBB36_3
.LBB36_2:                               ;   in Loop: Header=BB36_3 Depth=1
	s_wait_xcnt 0x0
	s_or_b32 exec_lo, exec_lo, s1
	s_add_co_i32 s2, s2, 0x10000
	s_delay_alu instid0(SALU_CYCLE_1)
	s_cmp_lt_u32 s2, s20
	s_cbranch_scc0 .LBB36_5
.LBB36_3:                               ; =>This Inner Loop Header: Depth=1
	s_mul_u64 s[8:9], s[6:7], s[2:3]
	s_delay_alu instid0(SALU_CYCLE_1) | instskip(NEXT) | instid1(SALU_CYCLE_1)
	s_lshl_b64 s[8:9], s[8:9], 1
	s_add_nc_u64 s[8:9], s[4:5], s[8:9]
	global_load_u16 v0, v1, s[8:9]
	s_wait_loadcnt 0x0
	v_readfirstlane_b32 s1, v0
	s_pack_ll_b32_b16 s1, s1, s1
	s_delay_alu instid0(SALU_CYCLE_1) | instskip(NEXT) | instid1(SALU_CYCLE_1)
	s_and_b32 s1, s1, 0x7fff
	s_cmp_lg_u32 s1, 0
	s_cselect_b32 s1, -1, 0
	s_wait_xcnt 0x0
	s_and_b32 s8, s1, s0
	s_delay_alu instid0(SALU_CYCLE_1)
	s_and_saveexec_b32 s1, s8
	s_cbranch_execz .LBB36_2
; %bb.4:                                ;   in Loop: Header=BB36_3 Depth=1
	s_mul_u64 s[8:9], s[18:19], s[2:3]
	s_mul_u64 s[10:11], s[12:13], s[2:3]
	v_lshl_add_u64 v[14:15], s[8:9], 3, v[4:5]
	v_lshl_add_u64 v[16:17], s[10:11], 3, v[2:3]
	global_load_b128 v[6:9], v[14:15], off
	global_load_b128 v[10:13], v[16:17], off
	s_wait_loadcnt 0x0
	v_pk_fma_f16 v9, v0, v13, v9 op_sel_hi:[0,1,1]
	v_pk_fma_f16 v8, v0, v12, v8 op_sel_hi:[0,1,1]
	;; [unrolled: 1-line block ×4, first 2 shown]
	global_store_b128 v[14:15], v[6:9], off
	s_branch .LBB36_2
.LBB36_5:
	s_endpgm
	.section	.rodata,"a",@progbits
	.p2align	6, 0x0
	.amdhsa_kernel _ZL26rocblas_haxpy_mlt_8_kernelILi256EPKDF16_PK19rocblas_complex_numIfEPS3_EviT0_lT1_llT2_lli
		.amdhsa_group_segment_fixed_size 0
		.amdhsa_private_segment_fixed_size 0
		.amdhsa_kernarg_size 76
		.amdhsa_user_sgpr_count 2
		.amdhsa_user_sgpr_dispatch_ptr 0
		.amdhsa_user_sgpr_queue_ptr 0
		.amdhsa_user_sgpr_kernarg_segment_ptr 1
		.amdhsa_user_sgpr_dispatch_id 0
		.amdhsa_user_sgpr_kernarg_preload_length 0
		.amdhsa_user_sgpr_kernarg_preload_offset 0
		.amdhsa_user_sgpr_private_segment_size 0
		.amdhsa_wavefront_size32 1
		.amdhsa_uses_dynamic_stack 0
		.amdhsa_enable_private_segment 0
		.amdhsa_system_sgpr_workgroup_id_x 1
		.amdhsa_system_sgpr_workgroup_id_y 0
		.amdhsa_system_sgpr_workgroup_id_z 1
		.amdhsa_system_sgpr_workgroup_info 0
		.amdhsa_system_vgpr_workitem_id 0
		.amdhsa_next_free_vgpr 18
		.amdhsa_next_free_sgpr 25
		.amdhsa_named_barrier_count 0
		.amdhsa_reserve_vcc 1
		.amdhsa_float_round_mode_32 0
		.amdhsa_float_round_mode_16_64 0
		.amdhsa_float_denorm_mode_32 3
		.amdhsa_float_denorm_mode_16_64 3
		.amdhsa_fp16_overflow 0
		.amdhsa_memory_ordered 1
		.amdhsa_forward_progress 1
		.amdhsa_inst_pref_size 4
		.amdhsa_round_robin_scheduling 0
		.amdhsa_exception_fp_ieee_invalid_op 0
		.amdhsa_exception_fp_denorm_src 0
		.amdhsa_exception_fp_ieee_div_zero 0
		.amdhsa_exception_fp_ieee_overflow 0
		.amdhsa_exception_fp_ieee_underflow 0
		.amdhsa_exception_fp_ieee_inexact 0
		.amdhsa_exception_int_div_zero 0
	.end_amdhsa_kernel
	.section	.text._ZL26rocblas_haxpy_mlt_8_kernelILi256EPKDF16_PK19rocblas_complex_numIfEPS3_EviT0_lT1_llT2_lli,"axG",@progbits,_ZL26rocblas_haxpy_mlt_8_kernelILi256EPKDF16_PK19rocblas_complex_numIfEPS3_EviT0_lT1_llT2_lli,comdat
.Lfunc_end36:
	.size	_ZL26rocblas_haxpy_mlt_8_kernelILi256EPKDF16_PK19rocblas_complex_numIfEPS3_EviT0_lT1_llT2_lli, .Lfunc_end36-_ZL26rocblas_haxpy_mlt_8_kernelILi256EPKDF16_PK19rocblas_complex_numIfEPS3_EviT0_lT1_llT2_lli
                                        ; -- End function
	.set _ZL26rocblas_haxpy_mlt_8_kernelILi256EPKDF16_PK19rocblas_complex_numIfEPS3_EviT0_lT1_llT2_lli.num_vgpr, 18
	.set _ZL26rocblas_haxpy_mlt_8_kernelILi256EPKDF16_PK19rocblas_complex_numIfEPS3_EviT0_lT1_llT2_lli.num_agpr, 0
	.set _ZL26rocblas_haxpy_mlt_8_kernelILi256EPKDF16_PK19rocblas_complex_numIfEPS3_EviT0_lT1_llT2_lli.numbered_sgpr, 25
	.set _ZL26rocblas_haxpy_mlt_8_kernelILi256EPKDF16_PK19rocblas_complex_numIfEPS3_EviT0_lT1_llT2_lli.num_named_barrier, 0
	.set _ZL26rocblas_haxpy_mlt_8_kernelILi256EPKDF16_PK19rocblas_complex_numIfEPS3_EviT0_lT1_llT2_lli.private_seg_size, 0
	.set _ZL26rocblas_haxpy_mlt_8_kernelILi256EPKDF16_PK19rocblas_complex_numIfEPS3_EviT0_lT1_llT2_lli.uses_vcc, 1
	.set _ZL26rocblas_haxpy_mlt_8_kernelILi256EPKDF16_PK19rocblas_complex_numIfEPS3_EviT0_lT1_llT2_lli.uses_flat_scratch, 0
	.set _ZL26rocblas_haxpy_mlt_8_kernelILi256EPKDF16_PK19rocblas_complex_numIfEPS3_EviT0_lT1_llT2_lli.has_dyn_sized_stack, 0
	.set _ZL26rocblas_haxpy_mlt_8_kernelILi256EPKDF16_PK19rocblas_complex_numIfEPS3_EviT0_lT1_llT2_lli.has_recursion, 0
	.set _ZL26rocblas_haxpy_mlt_8_kernelILi256EPKDF16_PK19rocblas_complex_numIfEPS3_EviT0_lT1_llT2_lli.has_indirect_call, 0
	.section	.AMDGPU.csdata,"",@progbits
; Kernel info:
; codeLenInByte = 412
; TotalNumSgprs: 27
; NumVgprs: 18
; ScratchSize: 0
; MemoryBound: 1
; FloatMode: 240
; IeeeMode: 1
; LDSByteSize: 0 bytes/workgroup (compile time only)
; SGPRBlocks: 0
; VGPRBlocks: 1
; NumSGPRsForWavesPerEU: 27
; NumVGPRsForWavesPerEU: 18
; NamedBarCnt: 0
; Occupancy: 16
; WaveLimiterHint : 0
; COMPUTE_PGM_RSRC2:SCRATCH_EN: 0
; COMPUTE_PGM_RSRC2:USER_SGPR: 2
; COMPUTE_PGM_RSRC2:TRAP_HANDLER: 0
; COMPUTE_PGM_RSRC2:TGID_X_EN: 1
; COMPUTE_PGM_RSRC2:TGID_Y_EN: 0
; COMPUTE_PGM_RSRC2:TGID_Z_EN: 1
; COMPUTE_PGM_RSRC2:TIDIG_COMP_CNT: 0
	.section	.text._ZL26rocblas_haxpy_mod_8_kernelILi256EPK19rocblas_complex_numIfES3_PS1_EviT0_lT1_llT2_lli,"axG",@progbits,_ZL26rocblas_haxpy_mod_8_kernelILi256EPK19rocblas_complex_numIfES3_PS1_EviT0_lT1_llT2_lli,comdat
	.globl	_ZL26rocblas_haxpy_mod_8_kernelILi256EPK19rocblas_complex_numIfES3_PS1_EviT0_lT1_llT2_lli ; -- Begin function _ZL26rocblas_haxpy_mod_8_kernelILi256EPK19rocblas_complex_numIfES3_PS1_EviT0_lT1_llT2_lli
	.p2align	8
	.type	_ZL26rocblas_haxpy_mod_8_kernelILi256EPK19rocblas_complex_numIfES3_PS1_EviT0_lT1_llT2_lli,@function
_ZL26rocblas_haxpy_mod_8_kernelILi256EPK19rocblas_complex_numIfES3_PS1_EviT0_lT1_llT2_lli: ; @_ZL26rocblas_haxpy_mod_8_kernelILi256EPK19rocblas_complex_numIfES3_PS1_EviT0_lT1_llT2_lli
; %bb.0:
	s_load_b32 s20, s[0:1], 0x48
	s_bfe_u32 s2, ttmp6, 0x40014
	s_lshr_b32 s3, ttmp7, 16
	s_add_co_i32 s2, s2, 1
	s_bfe_u32 s4, ttmp6, 0x40008
	s_mul_i32 s2, s3, s2
	s_getreg_b32 s21, hwreg(HW_REG_IB_STS2, 6, 4)
	s_add_co_i32 s4, s4, s2
	s_cmp_eq_u32 s21, 0
	s_cselect_b32 s2, s3, s4
	s_mov_b32 s3, 0
	s_wait_kmcnt 0x0
	s_cmp_ge_u32 s2, s20
	s_cbranch_scc1 .LBB37_5
; %bb.1:
	s_clause 0x1
	s_load_b32 s22, s[0:1], 0x0
	s_load_b512 s[4:19], s[0:1], 0x8
	s_wait_xcnt 0x0
	s_bfe_u32 s0, ttmp6, 0x4000c
	s_and_b32 s1, ttmp6, 15
	s_add_co_i32 s0, s0, 1
	v_mov_b32_e32 v1, 0
	s_mul_i32 s0, ttmp9, s0
	s_delay_alu instid0(SALU_CYCLE_1) | instskip(SKIP_4) | instid1(SALU_CYCLE_1)
	s_add_co_i32 s1, s1, s0
	s_wait_kmcnt 0x0
	s_ashr_i32 s23, s22, 31
	s_cmp_eq_u32 s21, 0
	s_cselect_b32 s0, ttmp9, s1
	v_lshl_or_b32 v0, s0, 8, v0
	s_lshl_b64 s[0:1], s[10:11], 3
	s_lshl_b64 s[10:11], s[16:17], 3
	s_add_nc_u64 s[0:1], s[8:9], s[0:1]
	s_add_nc_u64 s[8:9], s[14:15], s[10:11]
	v_lshlrev_b64_e32 v[4:5], 3, v[0:1]
	v_cmp_gt_i64_e32 vcc_lo, s[22:23], v[0:1]
	s_delay_alu instid0(VALU_DEP_2)
	v_add_nc_u64_e32 v[2:3], s[0:1], v[4:5]
	v_add_nc_u64_e32 v[4:5], s[8:9], v[4:5]
	s_branch .LBB37_3
.LBB37_2:                               ;   in Loop: Header=BB37_3 Depth=1
	s_wait_xcnt 0x0
	s_or_b32 exec_lo, exec_lo, s1
	s_add_co_i32 s2, s2, 0x10000
	s_delay_alu instid0(SALU_CYCLE_1)
	s_cmp_lt_u32 s2, s20
	s_cbranch_scc0 .LBB37_5
.LBB37_3:                               ; =>This Inner Loop Header: Depth=1
	s_mul_u64 s[0:1], s[6:7], s[2:3]
	s_delay_alu instid0(SALU_CYCLE_1) | instskip(NEXT) | instid1(SALU_CYCLE_1)
	s_lshl_b64 s[0:1], s[0:1], 3
	s_add_nc_u64 s[0:1], s[4:5], s[0:1]
	global_load_b64 v[6:7], v1, s[0:1]
	s_wait_loadcnt 0x0
	s_wait_xcnt 0x0
	v_readfirstlane_b32 s0, v6
	v_readfirstlane_b32 s8, v7
	s_or_b32 s1, s0, s8
	s_delay_alu instid0(SALU_CYCLE_1) | instskip(NEXT) | instid1(SALU_CYCLE_1)
	s_bitset0_b32 s1, 31
	s_cmp_lg_u32 s1, 0
	s_cselect_b32 s1, -1, 0
	s_delay_alu instid0(SALU_CYCLE_1) | instskip(NEXT) | instid1(SALU_CYCLE_1)
	s_and_b32 s9, vcc_lo, s1
	s_and_saveexec_b32 s1, s9
	s_cbranch_execz .LBB37_2
; %bb.4:                                ;   in Loop: Header=BB37_3 Depth=1
	s_mul_u64 s[10:11], s[12:13], s[2:3]
	s_delay_alu instid0(SALU_CYCLE_1) | instskip(SKIP_1) | instid1(SALU_CYCLE_1)
	v_lshl_add_u64 v[6:7], s[10:11], 3, v[2:3]
	s_mul_u64 s[10:11], s[18:19], s[2:3]
	v_lshl_add_u64 v[8:9], s[10:11], 3, v[4:5]
	global_load_b64 v[6:7], v[6:7], off
	global_load_b64 v[10:11], v[8:9], off
	s_wait_loadcnt 0x1
	v_pk_mul_f32 v[12:13], v[6:7], s[8:9] op_sel:[1,0] op_sel_hi:[0,0]
	s_delay_alu instid0(VALU_DEP_1) | instskip(SKIP_2) | instid1(VALU_DEP_1)
	v_pk_fma_f32 v[14:15], v[6:7], s[0:1], v[12:13] op_sel_hi:[1,0,1]
	v_mov_b32_e32 v0, s0
	s_wait_xcnt 0x1
	v_pk_fma_f32 v[6:7], v[6:7], v[0:1], v[12:13] neg_lo:[0,0,1] neg_hi:[0,0,1]
	s_delay_alu instid0(VALU_DEP_3) | instskip(SKIP_1) | instid1(VALU_DEP_1)
	v_mov_b32_e32 v7, v15
	s_wait_loadcnt 0x0
	v_pk_add_f32 v[6:7], v[10:11], v[6:7]
	global_store_b64 v[8:9], v[6:7], off
	s_branch .LBB37_2
.LBB37_5:
	s_endpgm
	.section	.rodata,"a",@progbits
	.p2align	6, 0x0
	.amdhsa_kernel _ZL26rocblas_haxpy_mod_8_kernelILi256EPK19rocblas_complex_numIfES3_PS1_EviT0_lT1_llT2_lli
		.amdhsa_group_segment_fixed_size 0
		.amdhsa_private_segment_fixed_size 0
		.amdhsa_kernarg_size 76
		.amdhsa_user_sgpr_count 2
		.amdhsa_user_sgpr_dispatch_ptr 0
		.amdhsa_user_sgpr_queue_ptr 0
		.amdhsa_user_sgpr_kernarg_segment_ptr 1
		.amdhsa_user_sgpr_dispatch_id 0
		.amdhsa_user_sgpr_kernarg_preload_length 0
		.amdhsa_user_sgpr_kernarg_preload_offset 0
		.amdhsa_user_sgpr_private_segment_size 0
		.amdhsa_wavefront_size32 1
		.amdhsa_uses_dynamic_stack 0
		.amdhsa_enable_private_segment 0
		.amdhsa_system_sgpr_workgroup_id_x 1
		.amdhsa_system_sgpr_workgroup_id_y 0
		.amdhsa_system_sgpr_workgroup_id_z 1
		.amdhsa_system_sgpr_workgroup_info 0
		.amdhsa_system_vgpr_workitem_id 0
		.amdhsa_next_free_vgpr 16
		.amdhsa_next_free_sgpr 24
		.amdhsa_named_barrier_count 0
		.amdhsa_reserve_vcc 1
		.amdhsa_float_round_mode_32 0
		.amdhsa_float_round_mode_16_64 0
		.amdhsa_float_denorm_mode_32 3
		.amdhsa_float_denorm_mode_16_64 3
		.amdhsa_fp16_overflow 0
		.amdhsa_memory_ordered 1
		.amdhsa_forward_progress 1
		.amdhsa_inst_pref_size 4
		.amdhsa_round_robin_scheduling 0
		.amdhsa_exception_fp_ieee_invalid_op 0
		.amdhsa_exception_fp_denorm_src 0
		.amdhsa_exception_fp_ieee_div_zero 0
		.amdhsa_exception_fp_ieee_overflow 0
		.amdhsa_exception_fp_ieee_underflow 0
		.amdhsa_exception_fp_ieee_inexact 0
		.amdhsa_exception_int_div_zero 0
	.end_amdhsa_kernel
	.section	.text._ZL26rocblas_haxpy_mod_8_kernelILi256EPK19rocblas_complex_numIfES3_PS1_EviT0_lT1_llT2_lli,"axG",@progbits,_ZL26rocblas_haxpy_mod_8_kernelILi256EPK19rocblas_complex_numIfES3_PS1_EviT0_lT1_llT2_lli,comdat
.Lfunc_end37:
	.size	_ZL26rocblas_haxpy_mod_8_kernelILi256EPK19rocblas_complex_numIfES3_PS1_EviT0_lT1_llT2_lli, .Lfunc_end37-_ZL26rocblas_haxpy_mod_8_kernelILi256EPK19rocblas_complex_numIfES3_PS1_EviT0_lT1_llT2_lli
                                        ; -- End function
	.set _ZL26rocblas_haxpy_mod_8_kernelILi256EPK19rocblas_complex_numIfES3_PS1_EviT0_lT1_llT2_lli.num_vgpr, 16
	.set _ZL26rocblas_haxpy_mod_8_kernelILi256EPK19rocblas_complex_numIfES3_PS1_EviT0_lT1_llT2_lli.num_agpr, 0
	.set _ZL26rocblas_haxpy_mod_8_kernelILi256EPK19rocblas_complex_numIfES3_PS1_EviT0_lT1_llT2_lli.numbered_sgpr, 24
	.set _ZL26rocblas_haxpy_mod_8_kernelILi256EPK19rocblas_complex_numIfES3_PS1_EviT0_lT1_llT2_lli.num_named_barrier, 0
	.set _ZL26rocblas_haxpy_mod_8_kernelILi256EPK19rocblas_complex_numIfES3_PS1_EviT0_lT1_llT2_lli.private_seg_size, 0
	.set _ZL26rocblas_haxpy_mod_8_kernelILi256EPK19rocblas_complex_numIfES3_PS1_EviT0_lT1_llT2_lli.uses_vcc, 1
	.set _ZL26rocblas_haxpy_mod_8_kernelILi256EPK19rocblas_complex_numIfES3_PS1_EviT0_lT1_llT2_lli.uses_flat_scratch, 0
	.set _ZL26rocblas_haxpy_mod_8_kernelILi256EPK19rocblas_complex_numIfES3_PS1_EviT0_lT1_llT2_lli.has_dyn_sized_stack, 0
	.set _ZL26rocblas_haxpy_mod_8_kernelILi256EPK19rocblas_complex_numIfES3_PS1_EviT0_lT1_llT2_lli.has_recursion, 0
	.set _ZL26rocblas_haxpy_mod_8_kernelILi256EPK19rocblas_complex_numIfES3_PS1_EviT0_lT1_llT2_lli.has_indirect_call, 0
	.section	.AMDGPU.csdata,"",@progbits
; Kernel info:
; codeLenInByte = 428
; TotalNumSgprs: 26
; NumVgprs: 16
; ScratchSize: 0
; MemoryBound: 0
; FloatMode: 240
; IeeeMode: 1
; LDSByteSize: 0 bytes/workgroup (compile time only)
; SGPRBlocks: 0
; VGPRBlocks: 0
; NumSGPRsForWavesPerEU: 26
; NumVGPRsForWavesPerEU: 16
; NamedBarCnt: 0
; Occupancy: 16
; WaveLimiterHint : 0
; COMPUTE_PGM_RSRC2:SCRATCH_EN: 0
; COMPUTE_PGM_RSRC2:USER_SGPR: 2
; COMPUTE_PGM_RSRC2:TRAP_HANDLER: 0
; COMPUTE_PGM_RSRC2:TGID_X_EN: 1
; COMPUTE_PGM_RSRC2:TGID_Y_EN: 0
; COMPUTE_PGM_RSRC2:TGID_Z_EN: 1
; COMPUTE_PGM_RSRC2:TIDIG_COMP_CNT: 0
	.section	.text._ZL26rocblas_haxpy_mlt_8_kernelILi256EDF16_PK19rocblas_complex_numIfEPS1_EviT0_lT1_llT2_lli,"axG",@progbits,_ZL26rocblas_haxpy_mlt_8_kernelILi256EDF16_PK19rocblas_complex_numIfEPS1_EviT0_lT1_llT2_lli,comdat
	.globl	_ZL26rocblas_haxpy_mlt_8_kernelILi256EDF16_PK19rocblas_complex_numIfEPS1_EviT0_lT1_llT2_lli ; -- Begin function _ZL26rocblas_haxpy_mlt_8_kernelILi256EDF16_PK19rocblas_complex_numIfEPS1_EviT0_lT1_llT2_lli
	.p2align	8
	.type	_ZL26rocblas_haxpy_mlt_8_kernelILi256EDF16_PK19rocblas_complex_numIfEPS1_EviT0_lT1_llT2_lli,@function
_ZL26rocblas_haxpy_mlt_8_kernelILi256EDF16_PK19rocblas_complex_numIfEPS1_EviT0_lT1_llT2_lli: ; @_ZL26rocblas_haxpy_mlt_8_kernelILi256EDF16_PK19rocblas_complex_numIfEPS1_EviT0_lT1_llT2_lli
; %bb.0:
	s_load_b32 s16, s[0:1], 0x40
	s_bfe_u32 s2, ttmp6, 0x40014
	s_lshr_b32 s3, ttmp7, 16
	s_add_co_i32 s2, s2, 1
	s_bfe_u32 s4, ttmp6, 0x40008
	s_mul_i32 s2, s3, s2
	s_getreg_b32 s17, hwreg(HW_REG_IB_STS2, 6, 4)
	s_add_co_i32 s4, s4, s2
	s_cmp_eq_u32 s17, 0
	s_cselect_b32 s2, s3, s4
	s_mov_b32 s3, 0
	s_wait_kmcnt 0x0
	s_cmp_ge_u32 s2, s16
	s_cbranch_scc1 .LBB38_5
; %bb.1:
	s_clause 0x2
	s_load_b128 s[12:15], s[0:1], 0x30
	s_load_b256 s[4:11], s[0:1], 0x10
	s_load_b64 s[18:19], s[0:1], 0x0
	s_wait_xcnt 0x0
	s_bfe_u32 s0, ttmp6, 0x4000c
	s_and_b32 s1, ttmp6, 15
	s_add_co_i32 s0, s0, 1
	v_mov_b32_e32 v1, 0
	s_mul_i32 s0, ttmp9, s0
	s_delay_alu instid0(SALU_CYCLE_1)
	s_add_co_i32 s1, s1, s0
	s_wait_kmcnt 0x0
	s_lshl_b64 s[12:13], s[12:13], 3
	s_lshl_b64 s[6:7], s[6:7], 3
	s_cmp_eq_u32 s17, 0
	s_add_nc_u64 s[4:5], s[4:5], s[6:7]
	s_cselect_b32 s0, ttmp9, s1
	s_add_nc_u64 s[6:7], s[10:11], s[12:13]
	v_lshl_or_b32 v0, s0, 8, v0
	s_pack_ll_b32_b16 s0, s19, s19
	s_delay_alu instid0(SALU_CYCLE_1) | instskip(NEXT) | instid1(SALU_CYCLE_1)
	s_and_b32 s1, s0, 0x7fff
	s_cmp_lg_u32 s1, 0
	s_delay_alu instid0(VALU_DEP_1) | instskip(SKIP_4) | instid1(VALU_DEP_2)
	v_lshlrev_b64_e32 v[2:3], 3, v[0:1]
	v_lshlrev_b64_e32 v[4:5], 6, v[0:1]
	s_cselect_b32 s17, -1, 0
	s_ashr_i32 s19, s18, 31
	s_mov_b32 s1, s0
	v_cmp_gt_i64_e32 vcc_lo, s[18:19], v[2:3]
	s_delay_alu instid0(VALU_DEP_2)
	v_add_nc_u64_e32 v[0:1], s[4:5], v[4:5]
	v_add_nc_u64_e32 v[2:3], s[6:7], v[4:5]
	s_mov_b32 s4, s0
	s_mov_b32 s6, s0
	s_and_b32 s5, s17, vcc_lo
	s_branch .LBB38_3
.LBB38_2:                               ;   in Loop: Header=BB38_3 Depth=1
	s_wait_xcnt 0x0
	s_or_b32 exec_lo, exec_lo, s7
	s_add_co_i32 s2, s2, 0x10000
	s_delay_alu instid0(SALU_CYCLE_1)
	s_cmp_lt_u32 s2, s16
	s_cbranch_scc0 .LBB38_5
.LBB38_3:                               ; =>This Inner Loop Header: Depth=1
	s_and_saveexec_b32 s7, s5
	s_cbranch_execz .LBB38_2
; %bb.4:                                ;   in Loop: Header=BB38_3 Depth=1
	s_mul_u64 s[10:11], s[14:15], s[2:3]
	s_mul_u64 s[12:13], s[8:9], s[2:3]
	v_lshl_add_u64 v[12:13], s[10:11], 3, v[2:3]
	v_lshl_add_u64 v[14:15], s[12:13], 3, v[0:1]
	global_load_b128 v[4:7], v[12:13], off
	global_load_b128 v[8:11], v[14:15], off
	s_wait_loadcnt 0x0
	v_pk_fma_f16 v7, s6, v11, v7
	v_pk_fma_f16 v6, s4, v10, v6
	;; [unrolled: 1-line block ×4, first 2 shown]
	global_store_b128 v[12:13], v[4:7], off
	s_branch .LBB38_2
.LBB38_5:
	s_endpgm
	.section	.rodata,"a",@progbits
	.p2align	6, 0x0
	.amdhsa_kernel _ZL26rocblas_haxpy_mlt_8_kernelILi256EDF16_PK19rocblas_complex_numIfEPS1_EviT0_lT1_llT2_lli
		.amdhsa_group_segment_fixed_size 0
		.amdhsa_private_segment_fixed_size 0
		.amdhsa_kernarg_size 68
		.amdhsa_user_sgpr_count 2
		.amdhsa_user_sgpr_dispatch_ptr 0
		.amdhsa_user_sgpr_queue_ptr 0
		.amdhsa_user_sgpr_kernarg_segment_ptr 1
		.amdhsa_user_sgpr_dispatch_id 0
		.amdhsa_user_sgpr_kernarg_preload_length 0
		.amdhsa_user_sgpr_kernarg_preload_offset 0
		.amdhsa_user_sgpr_private_segment_size 0
		.amdhsa_wavefront_size32 1
		.amdhsa_uses_dynamic_stack 0
		.amdhsa_enable_private_segment 0
		.amdhsa_system_sgpr_workgroup_id_x 1
		.amdhsa_system_sgpr_workgroup_id_y 0
		.amdhsa_system_sgpr_workgroup_id_z 1
		.amdhsa_system_sgpr_workgroup_info 0
		.amdhsa_system_vgpr_workitem_id 0
		.amdhsa_next_free_vgpr 16
		.amdhsa_next_free_sgpr 20
		.amdhsa_named_barrier_count 0
		.amdhsa_reserve_vcc 1
		.amdhsa_float_round_mode_32 0
		.amdhsa_float_round_mode_16_64 0
		.amdhsa_float_denorm_mode_32 3
		.amdhsa_float_denorm_mode_16_64 3
		.amdhsa_fp16_overflow 0
		.amdhsa_memory_ordered 1
		.amdhsa_forward_progress 1
		.amdhsa_inst_pref_size 3
		.amdhsa_round_robin_scheduling 0
		.amdhsa_exception_fp_ieee_invalid_op 0
		.amdhsa_exception_fp_denorm_src 0
		.amdhsa_exception_fp_ieee_div_zero 0
		.amdhsa_exception_fp_ieee_overflow 0
		.amdhsa_exception_fp_ieee_underflow 0
		.amdhsa_exception_fp_ieee_inexact 0
		.amdhsa_exception_int_div_zero 0
	.end_amdhsa_kernel
	.section	.text._ZL26rocblas_haxpy_mlt_8_kernelILi256EDF16_PK19rocblas_complex_numIfEPS1_EviT0_lT1_llT2_lli,"axG",@progbits,_ZL26rocblas_haxpy_mlt_8_kernelILi256EDF16_PK19rocblas_complex_numIfEPS1_EviT0_lT1_llT2_lli,comdat
.Lfunc_end38:
	.size	_ZL26rocblas_haxpy_mlt_8_kernelILi256EDF16_PK19rocblas_complex_numIfEPS1_EviT0_lT1_llT2_lli, .Lfunc_end38-_ZL26rocblas_haxpy_mlt_8_kernelILi256EDF16_PK19rocblas_complex_numIfEPS1_EviT0_lT1_llT2_lli
                                        ; -- End function
	.set _ZL26rocblas_haxpy_mlt_8_kernelILi256EDF16_PK19rocblas_complex_numIfEPS1_EviT0_lT1_llT2_lli.num_vgpr, 16
	.set _ZL26rocblas_haxpy_mlt_8_kernelILi256EDF16_PK19rocblas_complex_numIfEPS1_EviT0_lT1_llT2_lli.num_agpr, 0
	.set _ZL26rocblas_haxpy_mlt_8_kernelILi256EDF16_PK19rocblas_complex_numIfEPS1_EviT0_lT1_llT2_lli.numbered_sgpr, 20
	.set _ZL26rocblas_haxpy_mlt_8_kernelILi256EDF16_PK19rocblas_complex_numIfEPS1_EviT0_lT1_llT2_lli.num_named_barrier, 0
	.set _ZL26rocblas_haxpy_mlt_8_kernelILi256EDF16_PK19rocblas_complex_numIfEPS1_EviT0_lT1_llT2_lli.private_seg_size, 0
	.set _ZL26rocblas_haxpy_mlt_8_kernelILi256EDF16_PK19rocblas_complex_numIfEPS1_EviT0_lT1_llT2_lli.uses_vcc, 1
	.set _ZL26rocblas_haxpy_mlt_8_kernelILi256EDF16_PK19rocblas_complex_numIfEPS1_EviT0_lT1_llT2_lli.uses_flat_scratch, 0
	.set _ZL26rocblas_haxpy_mlt_8_kernelILi256EDF16_PK19rocblas_complex_numIfEPS1_EviT0_lT1_llT2_lli.has_dyn_sized_stack, 0
	.set _ZL26rocblas_haxpy_mlt_8_kernelILi256EDF16_PK19rocblas_complex_numIfEPS1_EviT0_lT1_llT2_lli.has_recursion, 0
	.set _ZL26rocblas_haxpy_mlt_8_kernelILi256EDF16_PK19rocblas_complex_numIfEPS1_EviT0_lT1_llT2_lli.has_indirect_call, 0
	.section	.AMDGPU.csdata,"",@progbits
; Kernel info:
; codeLenInByte = 384
; TotalNumSgprs: 22
; NumVgprs: 16
; ScratchSize: 0
; MemoryBound: 1
; FloatMode: 240
; IeeeMode: 1
; LDSByteSize: 0 bytes/workgroup (compile time only)
; SGPRBlocks: 0
; VGPRBlocks: 0
; NumSGPRsForWavesPerEU: 22
; NumVGPRsForWavesPerEU: 16
; NamedBarCnt: 0
; Occupancy: 16
; WaveLimiterHint : 0
; COMPUTE_PGM_RSRC2:SCRATCH_EN: 0
; COMPUTE_PGM_RSRC2:USER_SGPR: 2
; COMPUTE_PGM_RSRC2:TRAP_HANDLER: 0
; COMPUTE_PGM_RSRC2:TGID_X_EN: 1
; COMPUTE_PGM_RSRC2:TGID_Y_EN: 0
; COMPUTE_PGM_RSRC2:TGID_Z_EN: 1
; COMPUTE_PGM_RSRC2:TIDIG_COMP_CNT: 0
	.section	.text._ZL26rocblas_haxpy_mod_8_kernelILi256E19rocblas_complex_numIfEPKS1_PS1_EviT0_lT1_llT2_lli,"axG",@progbits,_ZL26rocblas_haxpy_mod_8_kernelILi256E19rocblas_complex_numIfEPKS1_PS1_EviT0_lT1_llT2_lli,comdat
	.globl	_ZL26rocblas_haxpy_mod_8_kernelILi256E19rocblas_complex_numIfEPKS1_PS1_EviT0_lT1_llT2_lli ; -- Begin function _ZL26rocblas_haxpy_mod_8_kernelILi256E19rocblas_complex_numIfEPKS1_PS1_EviT0_lT1_llT2_lli
	.p2align	8
	.type	_ZL26rocblas_haxpy_mod_8_kernelILi256E19rocblas_complex_numIfEPKS1_PS1_EviT0_lT1_llT2_lli,@function
_ZL26rocblas_haxpy_mod_8_kernelILi256E19rocblas_complex_numIfEPKS1_PS1_EviT0_lT1_llT2_lli: ; @_ZL26rocblas_haxpy_mod_8_kernelILi256E19rocblas_complex_numIfEPKS1_PS1_EviT0_lT1_llT2_lli
; %bb.0:
	s_load_b32 s18, s[0:1], 0x48
	s_bfe_u32 s2, ttmp6, 0x40014
	s_lshr_b32 s3, ttmp7, 16
	s_add_co_i32 s2, s2, 1
	s_bfe_u32 s4, ttmp6, 0x40008
	s_mul_i32 s2, s3, s2
	s_getreg_b32 s19, hwreg(HW_REG_IB_STS2, 6, 4)
	s_add_co_i32 s4, s4, s2
	s_cmp_eq_u32 s19, 0
	s_cselect_b32 s2, s3, s4
	s_mov_b32 s3, 0
	s_wait_kmcnt 0x0
	s_cmp_ge_u32 s2, s18
	s_cbranch_scc1 .LBB39_5
; %bb.1:
	s_clause 0x3
	s_load_b32 s20, s[0:1], 0x0
	s_load_b256 s[4:11], s[0:1], 0x18
	s_load_b128 s[12:15], s[0:1], 0x38
	s_load_b64 s[16:17], s[0:1], 0x4
	s_wait_xcnt 0x0
	s_bfe_u32 s0, ttmp6, 0x4000c
	s_and_b32 s1, ttmp6, 15
	s_add_co_i32 s0, s0, 1
	v_mov_b32_e32 v1, 0
	s_mul_i32 s0, ttmp9, s0
	s_delay_alu instid0(SALU_CYCLE_1) | instskip(SKIP_4) | instid1(SALU_CYCLE_1)
	s_add_co_i32 s1, s1, s0
	s_wait_kmcnt 0x0
	s_ashr_i32 s21, s20, 31
	s_cmp_eq_u32 s19, 0
	s_cselect_b32 s0, ttmp9, s1
	v_lshl_or_b32 v0, s0, 8, v0
	s_lshl_b64 s[0:1], s[6:7], 3
	s_lshl_b64 s[6:7], s[12:13], 3
	s_or_b32 s12, s16, s17
	s_add_nc_u64 s[0:1], s[4:5], s[0:1]
	v_lshlrev_b64_e32 v[2:3], 3, v[0:1]
	v_cmp_gt_i64_e32 vcc_lo, s[20:21], v[0:1]
	s_add_nc_u64 s[4:5], s[10:11], s[6:7]
	s_bitset0_b32 s12, 31
	s_delay_alu instid0(SALU_CYCLE_1) | instskip(NEXT) | instid1(VALU_DEP_2)
	s_cmp_lg_u32 s12, 0
	v_add_nc_u64_e32 v[0:1], s[0:1], v[2:3]
	v_add_nc_u64_e32 v[2:3], s[4:5], v[2:3]
	s_cselect_b32 s0, -1, 0
	s_mov_b32 s1, s16
	s_and_b32 s4, vcc_lo, s0
	s_mov_b32 s0, s16
	s_mov_b32 s16, s17
	s_branch .LBB39_3
.LBB39_2:                               ;   in Loop: Header=BB39_3 Depth=1
	s_wait_xcnt 0x0
	s_or_b32 exec_lo, exec_lo, s5
	s_add_co_i32 s2, s2, 0x10000
	s_delay_alu instid0(SALU_CYCLE_1)
	s_cmp_lt_u32 s2, s18
	s_cbranch_scc0 .LBB39_5
.LBB39_3:                               ; =>This Inner Loop Header: Depth=1
	s_and_saveexec_b32 s5, s4
	s_cbranch_execz .LBB39_2
; %bb.4:                                ;   in Loop: Header=BB39_3 Depth=1
	s_mul_u64 s[6:7], s[8:9], s[2:3]
	v_mov_b64_e32 v[10:11], s[16:17]
	v_lshl_add_u64 v[4:5], s[6:7], 3, v[0:1]
	s_mul_u64 s[6:7], s[14:15], s[2:3]
	v_mov_b64_e32 v[12:13], s[0:1]
	v_lshl_add_u64 v[6:7], s[6:7], 3, v[2:3]
	global_load_b64 v[4:5], v[4:5], off
	global_load_b64 v[8:9], v[6:7], off
	s_wait_loadcnt 0x1
	v_pk_mul_f32 v[10:11], v[4:5], v[10:11] op_sel:[1,0] op_sel_hi:[0,1]
	s_delay_alu instid0(VALU_DEP_1) | instskip(SKIP_2) | instid1(VALU_DEP_2)
	v_pk_fma_f32 v[14:15], v[4:5], v[12:13], v[10:11]
	s_wait_xcnt 0x1
	v_pk_fma_f32 v[4:5], v[4:5], v[12:13], v[10:11] neg_lo:[0,0,1] neg_hi:[0,0,1]
	v_mov_b32_e32 v5, v15
	s_wait_loadcnt 0x0
	s_delay_alu instid0(VALU_DEP_1)
	v_pk_add_f32 v[4:5], v[8:9], v[4:5]
	global_store_b64 v[6:7], v[4:5], off
	s_branch .LBB39_2
.LBB39_5:
	s_endpgm
	.section	.rodata,"a",@progbits
	.p2align	6, 0x0
	.amdhsa_kernel _ZL26rocblas_haxpy_mod_8_kernelILi256E19rocblas_complex_numIfEPKS1_PS1_EviT0_lT1_llT2_lli
		.amdhsa_group_segment_fixed_size 0
		.amdhsa_private_segment_fixed_size 0
		.amdhsa_kernarg_size 76
		.amdhsa_user_sgpr_count 2
		.amdhsa_user_sgpr_dispatch_ptr 0
		.amdhsa_user_sgpr_queue_ptr 0
		.amdhsa_user_sgpr_kernarg_segment_ptr 1
		.amdhsa_user_sgpr_dispatch_id 0
		.amdhsa_user_sgpr_kernarg_preload_length 0
		.amdhsa_user_sgpr_kernarg_preload_offset 0
		.amdhsa_user_sgpr_private_segment_size 0
		.amdhsa_wavefront_size32 1
		.amdhsa_uses_dynamic_stack 0
		.amdhsa_enable_private_segment 0
		.amdhsa_system_sgpr_workgroup_id_x 1
		.amdhsa_system_sgpr_workgroup_id_y 0
		.amdhsa_system_sgpr_workgroup_id_z 1
		.amdhsa_system_sgpr_workgroup_info 0
		.amdhsa_system_vgpr_workitem_id 0
		.amdhsa_next_free_vgpr 16
		.amdhsa_next_free_sgpr 22
		.amdhsa_named_barrier_count 0
		.amdhsa_reserve_vcc 1
		.amdhsa_float_round_mode_32 0
		.amdhsa_float_round_mode_16_64 0
		.amdhsa_float_denorm_mode_32 3
		.amdhsa_float_denorm_mode_16_64 3
		.amdhsa_fp16_overflow 0
		.amdhsa_memory_ordered 1
		.amdhsa_forward_progress 1
		.amdhsa_inst_pref_size 4
		.amdhsa_round_robin_scheduling 0
		.amdhsa_exception_fp_ieee_invalid_op 0
		.amdhsa_exception_fp_denorm_src 0
		.amdhsa_exception_fp_ieee_div_zero 0
		.amdhsa_exception_fp_ieee_overflow 0
		.amdhsa_exception_fp_ieee_underflow 0
		.amdhsa_exception_fp_ieee_inexact 0
		.amdhsa_exception_int_div_zero 0
	.end_amdhsa_kernel
	.section	.text._ZL26rocblas_haxpy_mod_8_kernelILi256E19rocblas_complex_numIfEPKS1_PS1_EviT0_lT1_llT2_lli,"axG",@progbits,_ZL26rocblas_haxpy_mod_8_kernelILi256E19rocblas_complex_numIfEPKS1_PS1_EviT0_lT1_llT2_lli,comdat
.Lfunc_end39:
	.size	_ZL26rocblas_haxpy_mod_8_kernelILi256E19rocblas_complex_numIfEPKS1_PS1_EviT0_lT1_llT2_lli, .Lfunc_end39-_ZL26rocblas_haxpy_mod_8_kernelILi256E19rocblas_complex_numIfEPKS1_PS1_EviT0_lT1_llT2_lli
                                        ; -- End function
	.set _ZL26rocblas_haxpy_mod_8_kernelILi256E19rocblas_complex_numIfEPKS1_PS1_EviT0_lT1_llT2_lli.num_vgpr, 16
	.set _ZL26rocblas_haxpy_mod_8_kernelILi256E19rocblas_complex_numIfEPKS1_PS1_EviT0_lT1_llT2_lli.num_agpr, 0
	.set _ZL26rocblas_haxpy_mod_8_kernelILi256E19rocblas_complex_numIfEPKS1_PS1_EviT0_lT1_llT2_lli.numbered_sgpr, 22
	.set _ZL26rocblas_haxpy_mod_8_kernelILi256E19rocblas_complex_numIfEPKS1_PS1_EviT0_lT1_llT2_lli.num_named_barrier, 0
	.set _ZL26rocblas_haxpy_mod_8_kernelILi256E19rocblas_complex_numIfEPKS1_PS1_EviT0_lT1_llT2_lli.private_seg_size, 0
	.set _ZL26rocblas_haxpy_mod_8_kernelILi256E19rocblas_complex_numIfEPKS1_PS1_EviT0_lT1_llT2_lli.uses_vcc, 1
	.set _ZL26rocblas_haxpy_mod_8_kernelILi256E19rocblas_complex_numIfEPKS1_PS1_EviT0_lT1_llT2_lli.uses_flat_scratch, 0
	.set _ZL26rocblas_haxpy_mod_8_kernelILi256E19rocblas_complex_numIfEPKS1_PS1_EviT0_lT1_llT2_lli.has_dyn_sized_stack, 0
	.set _ZL26rocblas_haxpy_mod_8_kernelILi256E19rocblas_complex_numIfEPKS1_PS1_EviT0_lT1_llT2_lli.has_recursion, 0
	.set _ZL26rocblas_haxpy_mod_8_kernelILi256E19rocblas_complex_numIfEPKS1_PS1_EviT0_lT1_llT2_lli.has_indirect_call, 0
	.section	.AMDGPU.csdata,"",@progbits
; Kernel info:
; codeLenInByte = 404
; TotalNumSgprs: 24
; NumVgprs: 16
; ScratchSize: 0
; MemoryBound: 0
; FloatMode: 240
; IeeeMode: 1
; LDSByteSize: 0 bytes/workgroup (compile time only)
; SGPRBlocks: 0
; VGPRBlocks: 0
; NumSGPRsForWavesPerEU: 24
; NumVGPRsForWavesPerEU: 16
; NamedBarCnt: 0
; Occupancy: 16
; WaveLimiterHint : 0
; COMPUTE_PGM_RSRC2:SCRATCH_EN: 0
; COMPUTE_PGM_RSRC2:USER_SGPR: 2
; COMPUTE_PGM_RSRC2:TRAP_HANDLER: 0
; COMPUTE_PGM_RSRC2:TGID_X_EN: 1
; COMPUTE_PGM_RSRC2:TGID_Y_EN: 0
; COMPUTE_PGM_RSRC2:TGID_Z_EN: 1
; COMPUTE_PGM_RSRC2:TIDIG_COMP_CNT: 0
	.section	.text._ZL22rocblas_saxpy_2_kernelILi256E19rocblas_complex_numIfEPKS1_S3_PS1_EviT1_lT2_llT3_lli,"axG",@progbits,_ZL22rocblas_saxpy_2_kernelILi256E19rocblas_complex_numIfEPKS1_S3_PS1_EviT1_lT2_llT3_lli,comdat
	.globl	_ZL22rocblas_saxpy_2_kernelILi256E19rocblas_complex_numIfEPKS1_S3_PS1_EviT1_lT2_llT3_lli ; -- Begin function _ZL22rocblas_saxpy_2_kernelILi256E19rocblas_complex_numIfEPKS1_S3_PS1_EviT1_lT2_llT3_lli
	.p2align	8
	.type	_ZL22rocblas_saxpy_2_kernelILi256E19rocblas_complex_numIfEPKS1_S3_PS1_EviT1_lT2_llT3_lli,@function
_ZL22rocblas_saxpy_2_kernelILi256E19rocblas_complex_numIfEPKS1_S3_PS1_EviT1_lT2_llT3_lli: ; @_ZL22rocblas_saxpy_2_kernelILi256E19rocblas_complex_numIfEPKS1_S3_PS1_EviT1_lT2_llT3_lli
; %bb.0:
	s_load_b32 s16, s[0:1], 0x48
	s_bfe_u32 s2, ttmp6, 0x40014
	s_lshr_b32 s3, ttmp7, 16
	s_add_co_i32 s2, s2, 1
	s_bfe_u32 s4, ttmp6, 0x40008
	s_mul_i32 s2, s3, s2
	s_getreg_b32 s17, hwreg(HW_REG_IB_STS2, 6, 4)
	s_add_co_i32 s4, s4, s2
	s_cmp_eq_u32 s17, 0
	s_cselect_b32 s2, s3, s4
	s_mov_b32 s3, 0
	s_wait_kmcnt 0x0
	s_cmp_ge_u32 s2, s16
	s_cbranch_scc1 .LBB40_9
; %bb.1:
	s_clause 0x4
	s_load_b32 s24, s[0:1], 0x0
	s_load_b128 s[4:7], s[0:1], 0x20
	s_load_b128 s[8:11], s[0:1], 0x38
	s_load_b64 s[18:19], s[0:1], 0x18
	s_load_b64 s[20:21], s[0:1], 0x30
	s_bfe_u32 s22, ttmp6, 0x4000c
	s_load_b128 s[12:15], s[0:1], 0x8
	s_add_co_i32 s22, s22, 1
	s_wait_xcnt 0x0
	s_and_b32 s0, ttmp6, 15
	s_mul_i32 s1, ttmp9, s22
	v_dual_mov_b32 v1, 0 :: v_dual_lshlrev_b32 v0, 1, v0
	s_add_co_i32 s0, s0, s1
	s_cmp_eq_u32 s17, 0
	s_cselect_b32 s0, ttmp9, s0
	s_delay_alu instid0(VALU_DEP_1) | instid1(SALU_CYCLE_1)
	v_lshl_or_b32 v0, s0, 9, v0
	s_wait_kmcnt 0x0
	s_add_co_i32 s22, s24, -1
	s_lshl_b64 s[4:5], s[4:5], 3
	s_ashr_i32 s23, s22, 31
	s_lshl_b64 s[8:9], s[8:9], 3
	v_cmp_eq_u64_e64 s0, s[22:23], v[0:1]
	v_cmp_gt_i64_e32 vcc_lo, s[22:23], v[0:1]
	v_lshlrev_b64_e32 v[0:1], 3, v[0:1]
	s_bitcmp1_b32 s24, 0
	s_add_nc_u64 s[4:5], s[18:19], s[4:5]
	s_cselect_b32 s1, -1, 0
	s_add_nc_u64 s[8:9], s[20:21], s[8:9]
	s_and_b32 s17, s1, s0
	s_branch .LBB40_4
.LBB40_2:                               ;   in Loop: Header=BB40_4 Depth=1
	s_wait_xcnt 0x0
	s_or_b32 exec_lo, exec_lo, s18
.LBB40_3:                               ;   in Loop: Header=BB40_4 Depth=1
	s_add_co_i32 s2, s2, 0x10000
	s_delay_alu instid0(SALU_CYCLE_1)
	s_cmp_lt_u32 s2, s16
	s_cbranch_scc0 .LBB40_9
.LBB40_4:                               ; =>This Inner Loop Header: Depth=1
	s_mul_u64 s[0:1], s[14:15], s[2:3]
	s_delay_alu instid0(SALU_CYCLE_1) | instskip(NEXT) | instid1(SALU_CYCLE_1)
	s_lshl_b64 s[0:1], s[0:1], 3
	s_add_nc_u64 s[18:19], s[12:13], s[0:1]
	s_load_b64 s[0:1], s[18:19], 0x0
	s_wait_kmcnt 0x0
	s_wait_xcnt 0x0
	s_or_b32 s18, s0, s1
	s_delay_alu instid0(SALU_CYCLE_1) | instskip(NEXT) | instid1(SALU_CYCLE_1)
	s_bitset0_b32 s18, 31
	s_cmp_eq_u32 s18, 0
	s_cbranch_scc1 .LBB40_3
; %bb.5:                                ;   in Loop: Header=BB40_4 Depth=1
	s_mul_u64 s[18:19], s[10:11], s[2:3]
	s_mul_u64 s[20:21], s[6:7], s[2:3]
	s_lshl_b64 s[18:19], s[18:19], 3
	s_lshl_b64 s[20:21], s[20:21], 3
	s_add_nc_u64 s[18:19], s[8:9], s[18:19]
	s_add_nc_u64 s[20:21], s[4:5], s[20:21]
	v_add_nc_u64_e32 v[2:3], s[18:19], v[0:1]
	v_add_nc_u64_e32 v[4:5], s[20:21], v[0:1]
	s_and_saveexec_b32 s18, vcc_lo
	s_cbranch_execz .LBB40_7
; %bb.6:                                ;   in Loop: Header=BB40_4 Depth=1
	global_load_b128 v[6:9], v[4:5], off
	global_load_b128 v[10:13], v[2:3], off
	s_mov_b32 s20, s1
	v_mov_b64_e32 v[18:19], s[0:1]
	s_wait_loadcnt 0x1
	v_pk_mul_f32 v[14:15], v[6:7], s[20:21] op_sel_hi:[1,0]
	v_pk_mul_f32 v[16:17], v[8:9], s[20:21] op_sel_hi:[1,0]
	s_delay_alu instid0(VALU_DEP_2) | instskip(NEXT) | instid1(VALU_DEP_2)
	v_pk_fma_f32 v[20:21], v[6:7], s[0:1], v[14:15] op_sel:[0,0,1] op_sel_hi:[1,0,0]
	v_pk_fma_f32 v[22:23], v[8:9], s[0:1], v[16:17] op_sel:[0,0,1] op_sel_hi:[1,0,0]
	v_pk_fma_f32 v[6:7], v[6:7], v[18:19], v[14:15] op_sel:[0,0,1] op_sel_hi:[1,1,0] neg_lo:[0,0,1] neg_hi:[0,0,1]
	v_pk_fma_f32 v[8:9], v[8:9], v[18:19], v[16:17] op_sel:[0,0,1] op_sel_hi:[1,1,0] neg_lo:[0,0,1] neg_hi:[0,0,1]
	s_delay_alu instid0(VALU_DEP_3) | instskip(SKIP_1) | instid1(VALU_DEP_1)
	v_dual_mov_b32 v7, v21 :: v_dual_mov_b32 v9, v23
	s_wait_loadcnt 0x0
	v_pk_add_f32 v[6:7], v[6:7], v[10:11]
	s_delay_alu instid0(VALU_DEP_2)
	v_pk_add_f32 v[8:9], v[8:9], v[12:13]
	global_store_b128 v[2:3], v[6:9], off
.LBB40_7:                               ;   in Loop: Header=BB40_4 Depth=1
	s_wait_xcnt 0x0
	s_or_b32 exec_lo, exec_lo, s18
	s_and_saveexec_b32 s18, s17
	s_cbranch_execz .LBB40_2
; %bb.8:                                ;   in Loop: Header=BB40_4 Depth=1
	global_load_b64 v[6:7], v[4:5], off
	global_load_b64 v[8:9], v[2:3], off
	s_mov_b32 s20, s1
	s_wait_loadcnt 0x1
	s_wait_xcnt 0x1
	v_pk_mul_f32 v[4:5], v[6:7], s[20:21] op_sel:[1,0] op_sel_hi:[0,0]
	s_delay_alu instid0(VALU_DEP_1) | instskip(SKIP_1) | instid1(VALU_DEP_1)
	v_pk_fma_f32 v[12:13], v[6:7], s[0:1], v[4:5] op_sel_hi:[1,0,1]
	v_mov_b32_e32 v10, s0
	v_pk_fma_f32 v[4:5], v[6:7], v[10:11], v[4:5] neg_lo:[0,0,1] neg_hi:[0,0,1]
	s_delay_alu instid0(VALU_DEP_3) | instskip(SKIP_1) | instid1(VALU_DEP_1)
	v_mov_b32_e32 v5, v13
	s_wait_loadcnt 0x0
	v_pk_add_f32 v[4:5], v[4:5], v[8:9]
	global_store_b64 v[2:3], v[4:5], off
	s_branch .LBB40_2
.LBB40_9:
	s_endpgm
	.section	.rodata,"a",@progbits
	.p2align	6, 0x0
	.amdhsa_kernel _ZL22rocblas_saxpy_2_kernelILi256E19rocblas_complex_numIfEPKS1_S3_PS1_EviT1_lT2_llT3_lli
		.amdhsa_group_segment_fixed_size 0
		.amdhsa_private_segment_fixed_size 0
		.amdhsa_kernarg_size 76
		.amdhsa_user_sgpr_count 2
		.amdhsa_user_sgpr_dispatch_ptr 0
		.amdhsa_user_sgpr_queue_ptr 0
		.amdhsa_user_sgpr_kernarg_segment_ptr 1
		.amdhsa_user_sgpr_dispatch_id 0
		.amdhsa_user_sgpr_kernarg_preload_length 0
		.amdhsa_user_sgpr_kernarg_preload_offset 0
		.amdhsa_user_sgpr_private_segment_size 0
		.amdhsa_wavefront_size32 1
		.amdhsa_uses_dynamic_stack 0
		.amdhsa_enable_private_segment 0
		.amdhsa_system_sgpr_workgroup_id_x 1
		.amdhsa_system_sgpr_workgroup_id_y 0
		.amdhsa_system_sgpr_workgroup_id_z 1
		.amdhsa_system_sgpr_workgroup_info 0
		.amdhsa_system_vgpr_workitem_id 0
		.amdhsa_next_free_vgpr 24
		.amdhsa_next_free_sgpr 25
		.amdhsa_named_barrier_count 0
		.amdhsa_reserve_vcc 1
		.amdhsa_float_round_mode_32 0
		.amdhsa_float_round_mode_16_64 0
		.amdhsa_float_denorm_mode_32 3
		.amdhsa_float_denorm_mode_16_64 3
		.amdhsa_fp16_overflow 0
		.amdhsa_memory_ordered 1
		.amdhsa_forward_progress 1
		.amdhsa_inst_pref_size 5
		.amdhsa_round_robin_scheduling 0
		.amdhsa_exception_fp_ieee_invalid_op 0
		.amdhsa_exception_fp_denorm_src 0
		.amdhsa_exception_fp_ieee_div_zero 0
		.amdhsa_exception_fp_ieee_overflow 0
		.amdhsa_exception_fp_ieee_underflow 0
		.amdhsa_exception_fp_ieee_inexact 0
		.amdhsa_exception_int_div_zero 0
	.end_amdhsa_kernel
	.section	.text._ZL22rocblas_saxpy_2_kernelILi256E19rocblas_complex_numIfEPKS1_S3_PS1_EviT1_lT2_llT3_lli,"axG",@progbits,_ZL22rocblas_saxpy_2_kernelILi256E19rocblas_complex_numIfEPKS1_S3_PS1_EviT1_lT2_llT3_lli,comdat
.Lfunc_end40:
	.size	_ZL22rocblas_saxpy_2_kernelILi256E19rocblas_complex_numIfEPKS1_S3_PS1_EviT1_lT2_llT3_lli, .Lfunc_end40-_ZL22rocblas_saxpy_2_kernelILi256E19rocblas_complex_numIfEPKS1_S3_PS1_EviT1_lT2_llT3_lli
                                        ; -- End function
	.set _ZL22rocblas_saxpy_2_kernelILi256E19rocblas_complex_numIfEPKS1_S3_PS1_EviT1_lT2_llT3_lli.num_vgpr, 24
	.set _ZL22rocblas_saxpy_2_kernelILi256E19rocblas_complex_numIfEPKS1_S3_PS1_EviT1_lT2_llT3_lli.num_agpr, 0
	.set _ZL22rocblas_saxpy_2_kernelILi256E19rocblas_complex_numIfEPKS1_S3_PS1_EviT1_lT2_llT3_lli.numbered_sgpr, 25
	.set _ZL22rocblas_saxpy_2_kernelILi256E19rocblas_complex_numIfEPKS1_S3_PS1_EviT1_lT2_llT3_lli.num_named_barrier, 0
	.set _ZL22rocblas_saxpy_2_kernelILi256E19rocblas_complex_numIfEPKS1_S3_PS1_EviT1_lT2_llT3_lli.private_seg_size, 0
	.set _ZL22rocblas_saxpy_2_kernelILi256E19rocblas_complex_numIfEPKS1_S3_PS1_EviT1_lT2_llT3_lli.uses_vcc, 1
	.set _ZL22rocblas_saxpy_2_kernelILi256E19rocblas_complex_numIfEPKS1_S3_PS1_EviT1_lT2_llT3_lli.uses_flat_scratch, 0
	.set _ZL22rocblas_saxpy_2_kernelILi256E19rocblas_complex_numIfEPKS1_S3_PS1_EviT1_lT2_llT3_lli.has_dyn_sized_stack, 0
	.set _ZL22rocblas_saxpy_2_kernelILi256E19rocblas_complex_numIfEPKS1_S3_PS1_EviT1_lT2_llT3_lli.has_recursion, 0
	.set _ZL22rocblas_saxpy_2_kernelILi256E19rocblas_complex_numIfEPKS1_S3_PS1_EviT1_lT2_llT3_lli.has_indirect_call, 0
	.section	.AMDGPU.csdata,"",@progbits
; Kernel info:
; codeLenInByte = 620
; TotalNumSgprs: 27
; NumVgprs: 24
; ScratchSize: 0
; MemoryBound: 0
; FloatMode: 240
; IeeeMode: 1
; LDSByteSize: 0 bytes/workgroup (compile time only)
; SGPRBlocks: 0
; VGPRBlocks: 1
; NumSGPRsForWavesPerEU: 27
; NumVGPRsForWavesPerEU: 24
; NamedBarCnt: 0
; Occupancy: 16
; WaveLimiterHint : 0
; COMPUTE_PGM_RSRC2:SCRATCH_EN: 0
; COMPUTE_PGM_RSRC2:USER_SGPR: 2
; COMPUTE_PGM_RSRC2:TRAP_HANDLER: 0
; COMPUTE_PGM_RSRC2:TGID_X_EN: 1
; COMPUTE_PGM_RSRC2:TGID_Y_EN: 0
; COMPUTE_PGM_RSRC2:TGID_Z_EN: 1
; COMPUTE_PGM_RSRC2:TIDIG_COMP_CNT: 0
	.section	.text._ZL22rocblas_saxpy_2_kernelILi256E19rocblas_complex_numIfES1_PKS1_PS1_EviT1_lT2_llT3_lli,"axG",@progbits,_ZL22rocblas_saxpy_2_kernelILi256E19rocblas_complex_numIfES1_PKS1_PS1_EviT1_lT2_llT3_lli,comdat
	.globl	_ZL22rocblas_saxpy_2_kernelILi256E19rocblas_complex_numIfES1_PKS1_PS1_EviT1_lT2_llT3_lli ; -- Begin function _ZL22rocblas_saxpy_2_kernelILi256E19rocblas_complex_numIfES1_PKS1_PS1_EviT1_lT2_llT3_lli
	.p2align	8
	.type	_ZL22rocblas_saxpy_2_kernelILi256E19rocblas_complex_numIfES1_PKS1_PS1_EviT1_lT2_llT3_lli,@function
_ZL22rocblas_saxpy_2_kernelILi256E19rocblas_complex_numIfES1_PKS1_PS1_EviT1_lT2_llT3_lli: ; @_ZL22rocblas_saxpy_2_kernelILi256E19rocblas_complex_numIfES1_PKS1_PS1_EviT1_lT2_llT3_lli
; %bb.0:
	s_load_b32 s16, s[0:1], 0x48
	s_bfe_u32 s2, ttmp6, 0x40014
	s_lshr_b32 s3, ttmp7, 16
	s_add_co_i32 s2, s2, 1
	s_bfe_u32 s4, ttmp6, 0x40008
	s_mul_i32 s2, s3, s2
	s_getreg_b32 s14, hwreg(HW_REG_IB_STS2, 6, 4)
	s_add_co_i32 s4, s4, s2
	s_cmp_eq_u32 s14, 0
	s_cselect_b32 s2, s3, s4
	s_mov_b32 s3, 0
	s_wait_kmcnt 0x0
	s_cmp_ge_u32 s2, s16
	s_cbranch_scc1 .LBB41_9
; %bb.1:
	s_clause 0x3
	s_load_b64 s[12:13], s[0:1], 0x4
	s_load_b128 s[4:7], s[0:1], 0x20
	s_load_b128 s[8:11], s[0:1], 0x38
	s_load_b32 s17, s[0:1], 0x0
	s_bfe_u32 s15, ttmp6, 0x4000c
	s_and_b32 s20, ttmp6, 15
	s_add_co_i32 s15, s15, 1
	v_dual_mov_b32 v3, 0 :: v_dual_lshlrev_b32 v0, 1, v0
	s_mul_i32 s15, ttmp9, s15
	s_load_b64 s[18:19], s[0:1], 0x18
	s_add_co_i32 s20, s20, s15
	s_cmp_eq_u32 s14, 0
	s_load_b64 s[14:15], s[0:1], 0x30
	s_wait_xcnt 0x0
	s_cselect_b32 s0, ttmp9, s20
	s_delay_alu instid0(SALU_CYCLE_1)
	v_lshl_or_b32 v2, s0, 9, v0
	s_wait_kmcnt 0x0
	s_or_b32 s0, s12, s13
	s_lshl_b64 s[20:21], s[4:5], 3
	s_bitset0_b32 s0, 31
	s_lshl_b64 s[22:23], s[8:9], 3
	s_cmp_lg_u32 s0, 0
	v_lshlrev_b64_e32 v[0:1], 3, v[2:3]
	s_cselect_b32 s1, -1, 0
	s_add_co_i32 s24, s17, -1
	s_mov_b32 s4, s12
	s_ashr_i32 s25, s24, 31
	s_bitcmp1_b32 s17, 0
	v_cmp_eq_u64_e32 vcc_lo, s[24:25], v[2:3]
	v_cmp_gt_i64_e64 s0, s[24:25], v[2:3]
	s_mov_b32 s5, s12
	s_cselect_b32 s12, -1, 0
	s_add_nc_u64 s[8:9], s[18:19], s[20:21]
	s_add_nc_u64 s[14:15], s[14:15], s[22:23]
	s_and_b32 s17, s12, vcc_lo
	s_mov_b32 s12, s13
	s_branch .LBB41_4
.LBB41_2:                               ;   in Loop: Header=BB41_4 Depth=1
	s_wait_xcnt 0x0
	s_or_b32 exec_lo, exec_lo, s18
.LBB41_3:                               ;   in Loop: Header=BB41_4 Depth=1
	s_add_co_i32 s2, s2, 0x10000
	s_delay_alu instid0(SALU_CYCLE_1)
	s_cmp_lt_u32 s2, s16
	s_cbranch_scc0 .LBB41_9
.LBB41_4:                               ; =>This Inner Loop Header: Depth=1
	s_and_not1_b32 vcc_lo, exec_lo, s1
	s_cbranch_vccnz .LBB41_3
; %bb.5:                                ;   in Loop: Header=BB41_4 Depth=1
	s_mul_u64 s[18:19], s[10:11], s[2:3]
	s_mul_u64 s[20:21], s[6:7], s[2:3]
	s_lshl_b64 s[18:19], s[18:19], 3
	s_lshl_b64 s[20:21], s[20:21], 3
	s_add_nc_u64 s[18:19], s[14:15], s[18:19]
	s_add_nc_u64 s[20:21], s[8:9], s[20:21]
	v_add_nc_u64_e32 v[2:3], s[18:19], v[0:1]
	v_add_nc_u64_e32 v[4:5], s[20:21], v[0:1]
	s_and_saveexec_b32 s18, s0
	s_cbranch_execz .LBB41_7
; %bb.6:                                ;   in Loop: Header=BB41_4 Depth=1
	global_load_b128 v[6:9], v[4:5], off
	global_load_b128 v[10:13], v[2:3], off
	v_mov_b64_e32 v[14:15], s[12:13]
	v_mov_b64_e32 v[16:17], s[4:5]
	s_wait_loadcnt 0x1
	s_delay_alu instid0(VALU_DEP_2) | instskip(SKIP_1) | instid1(VALU_DEP_2)
	v_pk_mul_f32 v[18:19], v[6:7], v[14:15]
	v_pk_mul_f32 v[14:15], v[8:9], v[14:15]
	v_pk_fma_f32 v[20:21], v[6:7], v[16:17], v[18:19] op_sel:[0,0,1] op_sel_hi:[1,1,0]
	s_delay_alu instid0(VALU_DEP_2) | instskip(SKIP_2) | instid1(VALU_DEP_3)
	v_pk_fma_f32 v[22:23], v[8:9], v[16:17], v[14:15] op_sel:[0,0,1] op_sel_hi:[1,1,0]
	v_pk_fma_f32 v[6:7], v[6:7], v[16:17], v[18:19] op_sel:[0,0,1] op_sel_hi:[1,1,0] neg_lo:[0,0,1] neg_hi:[0,0,1]
	v_pk_fma_f32 v[8:9], v[8:9], v[16:17], v[14:15] op_sel:[0,0,1] op_sel_hi:[1,1,0] neg_lo:[0,0,1] neg_hi:[0,0,1]
	v_dual_mov_b32 v7, v21 :: v_dual_mov_b32 v9, v23
	s_wait_loadcnt 0x0
	s_delay_alu instid0(VALU_DEP_1) | instskip(NEXT) | instid1(VALU_DEP_2)
	v_pk_add_f32 v[6:7], v[6:7], v[10:11]
	v_pk_add_f32 v[8:9], v[8:9], v[12:13]
	global_store_b128 v[2:3], v[6:9], off
.LBB41_7:                               ;   in Loop: Header=BB41_4 Depth=1
	s_wait_xcnt 0x0
	s_or_b32 exec_lo, exec_lo, s18
	s_and_saveexec_b32 s18, s17
	s_cbranch_execz .LBB41_2
; %bb.8:                                ;   in Loop: Header=BB41_4 Depth=1
	global_load_b64 v[6:7], v[4:5], off
	global_load_b64 v[8:9], v[2:3], off
	s_wait_xcnt 0x1
	v_mov_b64_e32 v[4:5], s[12:13]
	v_mov_b64_e32 v[10:11], s[4:5]
	s_wait_loadcnt 0x1
	s_delay_alu instid0(VALU_DEP_2) | instskip(NEXT) | instid1(VALU_DEP_1)
	v_pk_mul_f32 v[4:5], v[6:7], v[4:5]
	v_pk_fma_f32 v[12:13], v[6:7], v[10:11], v[4:5] op_sel:[0,0,1] op_sel_hi:[1,1,0]
	v_pk_fma_f32 v[4:5], v[6:7], v[10:11], v[4:5] op_sel:[0,0,1] op_sel_hi:[1,1,0] neg_lo:[0,0,1] neg_hi:[0,0,1]
	s_delay_alu instid0(VALU_DEP_2) | instskip(SKIP_1) | instid1(VALU_DEP_1)
	v_mov_b32_e32 v5, v13
	s_wait_loadcnt 0x0
	v_pk_add_f32 v[4:5], v[4:5], v[8:9]
	global_store_b64 v[2:3], v[4:5], off
	s_branch .LBB41_2
.LBB41_9:
	s_endpgm
	.section	.rodata,"a",@progbits
	.p2align	6, 0x0
	.amdhsa_kernel _ZL22rocblas_saxpy_2_kernelILi256E19rocblas_complex_numIfES1_PKS1_PS1_EviT1_lT2_llT3_lli
		.amdhsa_group_segment_fixed_size 0
		.amdhsa_private_segment_fixed_size 0
		.amdhsa_kernarg_size 76
		.amdhsa_user_sgpr_count 2
		.amdhsa_user_sgpr_dispatch_ptr 0
		.amdhsa_user_sgpr_queue_ptr 0
		.amdhsa_user_sgpr_kernarg_segment_ptr 1
		.amdhsa_user_sgpr_dispatch_id 0
		.amdhsa_user_sgpr_kernarg_preload_length 0
		.amdhsa_user_sgpr_kernarg_preload_offset 0
		.amdhsa_user_sgpr_private_segment_size 0
		.amdhsa_wavefront_size32 1
		.amdhsa_uses_dynamic_stack 0
		.amdhsa_enable_private_segment 0
		.amdhsa_system_sgpr_workgroup_id_x 1
		.amdhsa_system_sgpr_workgroup_id_y 0
		.amdhsa_system_sgpr_workgroup_id_z 1
		.amdhsa_system_sgpr_workgroup_info 0
		.amdhsa_system_vgpr_workitem_id 0
		.amdhsa_next_free_vgpr 24
		.amdhsa_next_free_sgpr 26
		.amdhsa_named_barrier_count 0
		.amdhsa_reserve_vcc 1
		.amdhsa_float_round_mode_32 0
		.amdhsa_float_round_mode_16_64 0
		.amdhsa_float_denorm_mode_32 3
		.amdhsa_float_denorm_mode_16_64 3
		.amdhsa_fp16_overflow 0
		.amdhsa_memory_ordered 1
		.amdhsa_forward_progress 1
		.amdhsa_inst_pref_size 5
		.amdhsa_round_robin_scheduling 0
		.amdhsa_exception_fp_ieee_invalid_op 0
		.amdhsa_exception_fp_denorm_src 0
		.amdhsa_exception_fp_ieee_div_zero 0
		.amdhsa_exception_fp_ieee_overflow 0
		.amdhsa_exception_fp_ieee_underflow 0
		.amdhsa_exception_fp_ieee_inexact 0
		.amdhsa_exception_int_div_zero 0
	.end_amdhsa_kernel
	.section	.text._ZL22rocblas_saxpy_2_kernelILi256E19rocblas_complex_numIfES1_PKS1_PS1_EviT1_lT2_llT3_lli,"axG",@progbits,_ZL22rocblas_saxpy_2_kernelILi256E19rocblas_complex_numIfES1_PKS1_PS1_EviT1_lT2_llT3_lli,comdat
.Lfunc_end41:
	.size	_ZL22rocblas_saxpy_2_kernelILi256E19rocblas_complex_numIfES1_PKS1_PS1_EviT1_lT2_llT3_lli, .Lfunc_end41-_ZL22rocblas_saxpy_2_kernelILi256E19rocblas_complex_numIfES1_PKS1_PS1_EviT1_lT2_llT3_lli
                                        ; -- End function
	.set _ZL22rocblas_saxpy_2_kernelILi256E19rocblas_complex_numIfES1_PKS1_PS1_EviT1_lT2_llT3_lli.num_vgpr, 24
	.set _ZL22rocblas_saxpy_2_kernelILi256E19rocblas_complex_numIfES1_PKS1_PS1_EviT1_lT2_llT3_lli.num_agpr, 0
	.set _ZL22rocblas_saxpy_2_kernelILi256E19rocblas_complex_numIfES1_PKS1_PS1_EviT1_lT2_llT3_lli.numbered_sgpr, 26
	.set _ZL22rocblas_saxpy_2_kernelILi256E19rocblas_complex_numIfES1_PKS1_PS1_EviT1_lT2_llT3_lli.num_named_barrier, 0
	.set _ZL22rocblas_saxpy_2_kernelILi256E19rocblas_complex_numIfES1_PKS1_PS1_EviT1_lT2_llT3_lli.private_seg_size, 0
	.set _ZL22rocblas_saxpy_2_kernelILi256E19rocblas_complex_numIfES1_PKS1_PS1_EviT1_lT2_llT3_lli.uses_vcc, 1
	.set _ZL22rocblas_saxpy_2_kernelILi256E19rocblas_complex_numIfES1_PKS1_PS1_EviT1_lT2_llT3_lli.uses_flat_scratch, 0
	.set _ZL22rocblas_saxpy_2_kernelILi256E19rocblas_complex_numIfES1_PKS1_PS1_EviT1_lT2_llT3_lli.has_dyn_sized_stack, 0
	.set _ZL22rocblas_saxpy_2_kernelILi256E19rocblas_complex_numIfES1_PKS1_PS1_EviT1_lT2_llT3_lli.has_recursion, 0
	.set _ZL22rocblas_saxpy_2_kernelILi256E19rocblas_complex_numIfES1_PKS1_PS1_EviT1_lT2_llT3_lli.has_indirect_call, 0
	.section	.AMDGPU.csdata,"",@progbits
; Kernel info:
; codeLenInByte = 604
; TotalNumSgprs: 28
; NumVgprs: 24
; ScratchSize: 0
; MemoryBound: 0
; FloatMode: 240
; IeeeMode: 1
; LDSByteSize: 0 bytes/workgroup (compile time only)
; SGPRBlocks: 0
; VGPRBlocks: 1
; NumSGPRsForWavesPerEU: 28
; NumVGPRsForWavesPerEU: 24
; NamedBarCnt: 0
; Occupancy: 16
; WaveLimiterHint : 0
; COMPUTE_PGM_RSRC2:SCRATCH_EN: 0
; COMPUTE_PGM_RSRC2:USER_SGPR: 2
; COMPUTE_PGM_RSRC2:TRAP_HANDLER: 0
; COMPUTE_PGM_RSRC2:TGID_X_EN: 1
; COMPUTE_PGM_RSRC2:TGID_Y_EN: 0
; COMPUTE_PGM_RSRC2:TGID_Z_EN: 1
; COMPUTE_PGM_RSRC2:TIDIG_COMP_CNT: 0
	.section	.text._ZL27rocblas_axpy_kernel_batchedIiLi128ELi8E19rocblas_complex_numIfEPKS1_S3_PS1_EviT3_lT4_lT_lT5_lS7_li,"axG",@progbits,_ZL27rocblas_axpy_kernel_batchedIiLi128ELi8E19rocblas_complex_numIfEPKS1_S3_PS1_EviT3_lT4_lT_lT5_lS7_li,comdat
	.globl	_ZL27rocblas_axpy_kernel_batchedIiLi128ELi8E19rocblas_complex_numIfEPKS1_S3_PS1_EviT3_lT4_lT_lT5_lS7_li ; -- Begin function _ZL27rocblas_axpy_kernel_batchedIiLi128ELi8E19rocblas_complex_numIfEPKS1_S3_PS1_EviT3_lT4_lT_lT5_lS7_li
	.p2align	8
	.type	_ZL27rocblas_axpy_kernel_batchedIiLi128ELi8E19rocblas_complex_numIfEPKS1_S3_PS1_EviT3_lT4_lT_lT5_lS7_li,@function
_ZL27rocblas_axpy_kernel_batchedIiLi128ELi8E19rocblas_complex_numIfEPKS1_S3_PS1_EviT3_lT4_lT_lT5_lS7_li: ; @_ZL27rocblas_axpy_kernel_batchedIiLi128ELi8E19rocblas_complex_numIfEPKS1_S3_PS1_EviT3_lT4_lT_lT5_lS7_li
; %bb.0:
	s_load_b32 s4, s[0:1], 0x0
	s_bfe_u32 s2, ttmp6, 0x4000c
	s_and_b32 s3, ttmp6, 15
	s_add_co_i32 s5, s2, 1
	s_getreg_b32 s2, hwreg(HW_REG_IB_STS2, 6, 4)
	s_mul_i32 s5, ttmp9, s5
	v_and_b32_e32 v1, 0x3ff, v0
	s_add_co_i32 s3, s3, s5
	v_mov_b32_e32 v3, 0
	s_wait_kmcnt 0x0
	s_ashr_i32 s5, s4, 31
	s_cmp_eq_u32 s2, 0
	s_cselect_b32 s3, ttmp9, s3
	s_delay_alu instid0(SALU_CYCLE_1) | instskip(SKIP_1) | instid1(VALU_DEP_1)
	v_lshl_add_u32 v2, s3, 7, v1
	s_mov_b32 s3, exec_lo
	v_cmpx_gt_i64_e64 s[4:5], v[2:3]
	s_cbranch_execz .LBB42_15
; %bb.1:
	s_load_b32 s16, s[0:1], 0x58
	s_bfe_u32 s3, ttmp6, 0x40014
	v_lshrrev_b32_e32 v0, 8, v0
	s_lshr_b32 s4, ttmp7, 16
	s_add_co_i32 s3, s3, 1
	s_bfe_u32 s5, ttmp6, 0x40008
	s_mul_i32 s3, s4, s3
	v_and_b32_e32 v0, 0xffc, v0
	s_add_co_i32 s5, s5, s3
	s_cmp_eq_u32 s2, 0
	s_cselect_b32 s2, s4, s5
	s_delay_alu instid0(VALU_DEP_1) | instid1(SALU_CYCLE_1)
	v_lshl_add_u32 v0, s2, 5, v0
	s_wait_kmcnt 0x0
	s_delay_alu instid0(VALU_DEP_1)
	v_cmp_gt_u32_e32 vcc_lo, s16, v0
	s_and_b32 exec_lo, exec_lo, vcc_lo
	s_cbranch_execz .LBB42_15
; %bb.2:
	s_clause 0x4
	s_load_b32 s4, s[0:1], 0x28
	s_load_b96 s[20:22], s[0:1], 0x40
	s_load_b128 s[12:15], s[0:1], 0x30
	s_load_b64 s[2:3], s[0:1], 0x50
	s_load_b32 s17, s[0:1], 0x68
	v_mov_b32_e32 v1, 0
	s_wait_kmcnt 0x0
	s_ashr_i32 s5, s4, 31
	s_ashr_i32 s7, s22, 31
	s_mov_b32 s6, s22
	v_mul_u64_e32 v[4:5], s[4:5], v[2:3]
	v_mul_u64_e32 v[6:7], s[6:7], v[2:3]
	s_load_b256 s[4:11], s[0:1], 0x8
	s_wait_kmcnt 0x0
	s_lshl_b64 s[0:1], s[10:11], 3
	s_lshl_b64 s[10:11], s[20:21], 3
	s_add_nc_u64 s[0:1], s[8:9], s[0:1]
	s_add_nc_u64 s[8:9], s[14:15], s[10:11]
	s_delay_alu instid0(VALU_DEP_2) | instskip(NEXT) | instid1(VALU_DEP_2)
	v_lshl_add_u64 v[2:3], v[4:5], 3, s[0:1]
	v_lshl_add_u64 v[4:5], v[6:7], 3, s[8:9]
	s_lshl_b32 s0, s17, 5
	s_mov_b32 s1, 0
	s_branch .LBB42_4
.LBB42_3:                               ;   in Loop: Header=BB42_4 Depth=1
	s_wait_xcnt 0x0
	s_or_b32 exec_lo, exec_lo, s8
	v_add_nc_u32_e32 v0, s0, v0
	s_delay_alu instid0(VALU_DEP_1) | instskip(SKIP_1) | instid1(SALU_CYCLE_1)
	v_cmp_le_u32_e32 vcc_lo, s16, v0
	s_or_b32 s1, vcc_lo, s1
	s_and_not1_b32 exec_lo, exec_lo, s1
	s_cbranch_execz .LBB42_15
.LBB42_4:                               ; =>This Inner Loop Header: Depth=1
	v_mul_u64_e32 v[6:7], s[6:7], v[0:1]
	s_mov_b32 s8, exec_lo
	s_delay_alu instid0(VALU_DEP_1) | instskip(SKIP_4) | instid1(VALU_DEP_1)
	v_lshl_add_u64 v[6:7], v[6:7], 3, s[4:5]
	global_load_b64 v[6:7], v[6:7], off
	s_wait_loadcnt 0x0
	v_bitop3_b32 v8, v6, 0x7fffffff, v7 bitop3:0xc8
	s_wait_xcnt 0x0
	v_cmpx_ne_u32_e32 0, v8
	s_cbranch_execz .LBB42_6
; %bb.5:                                ;   in Loop: Header=BB42_4 Depth=1
	v_mul_u64_e32 v[8:9], s[12:13], v[0:1]
	v_mul_u64_e32 v[10:11], s[2:3], v[0:1]
	v_mov_b32_e32 v14, v7
	s_delay_alu instid0(VALU_DEP_3) | instskip(NEXT) | instid1(VALU_DEP_3)
	v_lshl_add_u64 v[8:9], v[8:9], 3, v[2:3]
	v_lshl_add_u64 v[10:11], v[10:11], 3, v[4:5]
	global_load_b64 v[8:9], v[8:9], off
	global_load_b64 v[12:13], v[10:11], off
	s_wait_loadcnt 0x1
	v_pk_mul_f32 v[14:15], v[8:9], v[14:15] op_sel:[1,0] op_sel_hi:[0,0]
	s_delay_alu instid0(VALU_DEP_1) | instskip(SKIP_1) | instid1(VALU_DEP_2)
	v_pk_fma_f32 v[16:17], v[8:9], v[6:7], v[14:15] op_sel_hi:[1,0,1]
	v_pk_fma_f32 v[6:7], v[8:9], v[6:7], v[14:15] neg_lo:[0,0,1] neg_hi:[0,0,1]
	v_mov_b32_e32 v7, v17
	s_wait_loadcnt 0x0
	s_delay_alu instid0(VALU_DEP_1)
	v_pk_add_f32 v[6:7], v[6:7], v[12:13]
	global_store_b64 v[10:11], v[6:7], off
.LBB42_6:                               ;   in Loop: Header=BB42_4 Depth=1
	s_wait_xcnt 0x0
	s_or_b32 exec_lo, exec_lo, s8
	v_add_nc_u32_e32 v8, 1, v0
	s_mov_b32 s8, exec_lo
	s_delay_alu instid0(VALU_DEP_1)
	v_cmpx_gt_u32_e64 s16, v8
	s_cbranch_execz .LBB42_9
; %bb.7:                                ;   in Loop: Header=BB42_4 Depth=1
	v_mov_b32_e32 v9, v1
	s_delay_alu instid0(VALU_DEP_1) | instskip(NEXT) | instid1(VALU_DEP_1)
	v_mul_u64_e32 v[6:7], s[6:7], v[8:9]
	v_lshl_add_u64 v[6:7], v[6:7], 3, s[4:5]
	global_load_b64 v[6:7], v[6:7], off
	s_wait_loadcnt 0x0
	v_bitop3_b32 v10, v6, 0x7fffffff, v7 bitop3:0xc8
	s_delay_alu instid0(VALU_DEP_1)
	v_cmp_ne_u32_e32 vcc_lo, 0, v10
	s_wait_xcnt 0x0
	s_and_b32 exec_lo, exec_lo, vcc_lo
	s_cbranch_execz .LBB42_9
; %bb.8:                                ;   in Loop: Header=BB42_4 Depth=1
	v_mul_u64_e32 v[10:11], s[12:13], v[8:9]
	v_mul_u64_e32 v[8:9], s[2:3], v[8:9]
	v_mov_b32_e32 v14, v7
	s_delay_alu instid0(VALU_DEP_3) | instskip(NEXT) | instid1(VALU_DEP_3)
	v_lshl_add_u64 v[10:11], v[10:11], 3, v[2:3]
	v_lshl_add_u64 v[8:9], v[8:9], 3, v[4:5]
	global_load_b64 v[10:11], v[10:11], off
	global_load_b64 v[12:13], v[8:9], off
	s_wait_loadcnt 0x1
	v_pk_mul_f32 v[14:15], v[10:11], v[14:15] op_sel:[1,0] op_sel_hi:[0,0]
	s_delay_alu instid0(VALU_DEP_1) | instskip(SKIP_1) | instid1(VALU_DEP_2)
	v_pk_fma_f32 v[16:17], v[10:11], v[6:7], v[14:15] op_sel_hi:[1,0,1]
	v_pk_fma_f32 v[6:7], v[10:11], v[6:7], v[14:15] neg_lo:[0,0,1] neg_hi:[0,0,1]
	v_mov_b32_e32 v7, v17
	s_wait_loadcnt 0x0
	s_delay_alu instid0(VALU_DEP_1)
	v_pk_add_f32 v[6:7], v[6:7], v[12:13]
	global_store_b64 v[8:9], v[6:7], off
.LBB42_9:                               ;   in Loop: Header=BB42_4 Depth=1
	s_wait_xcnt 0x0
	s_or_b32 exec_lo, exec_lo, s8
	v_add_nc_u32_e32 v8, 2, v0
	s_mov_b32 s8, exec_lo
	s_delay_alu instid0(VALU_DEP_1)
	v_cmpx_gt_u32_e64 s16, v8
	s_cbranch_execz .LBB42_12
; %bb.10:                               ;   in Loop: Header=BB42_4 Depth=1
	v_mov_b32_e32 v9, v1
	s_delay_alu instid0(VALU_DEP_1) | instskip(NEXT) | instid1(VALU_DEP_1)
	v_mul_u64_e32 v[6:7], s[6:7], v[8:9]
	v_lshl_add_u64 v[6:7], v[6:7], 3, s[4:5]
	global_load_b64 v[6:7], v[6:7], off
	s_wait_loadcnt 0x0
	v_bitop3_b32 v10, v6, 0x7fffffff, v7 bitop3:0xc8
	s_delay_alu instid0(VALU_DEP_1)
	v_cmp_ne_u32_e32 vcc_lo, 0, v10
	s_wait_xcnt 0x0
	s_and_b32 exec_lo, exec_lo, vcc_lo
	s_cbranch_execz .LBB42_12
; %bb.11:                               ;   in Loop: Header=BB42_4 Depth=1
	v_mul_u64_e32 v[10:11], s[12:13], v[8:9]
	v_mul_u64_e32 v[8:9], s[2:3], v[8:9]
	v_mov_b32_e32 v14, v7
	s_delay_alu instid0(VALU_DEP_3) | instskip(NEXT) | instid1(VALU_DEP_3)
	v_lshl_add_u64 v[10:11], v[10:11], 3, v[2:3]
	v_lshl_add_u64 v[8:9], v[8:9], 3, v[4:5]
	global_load_b64 v[10:11], v[10:11], off
	global_load_b64 v[12:13], v[8:9], off
	s_wait_loadcnt 0x1
	v_pk_mul_f32 v[14:15], v[10:11], v[14:15] op_sel:[1,0] op_sel_hi:[0,0]
	s_delay_alu instid0(VALU_DEP_1) | instskip(SKIP_1) | instid1(VALU_DEP_2)
	v_pk_fma_f32 v[16:17], v[10:11], v[6:7], v[14:15] op_sel_hi:[1,0,1]
	v_pk_fma_f32 v[6:7], v[10:11], v[6:7], v[14:15] neg_lo:[0,0,1] neg_hi:[0,0,1]
	v_mov_b32_e32 v7, v17
	s_wait_loadcnt 0x0
	s_delay_alu instid0(VALU_DEP_1)
	v_pk_add_f32 v[6:7], v[6:7], v[12:13]
	global_store_b64 v[8:9], v[6:7], off
.LBB42_12:                              ;   in Loop: Header=BB42_4 Depth=1
	s_wait_xcnt 0x0
	s_or_b32 exec_lo, exec_lo, s8
	v_add_nc_u32_e32 v8, 3, v0
	s_mov_b32 s8, exec_lo
	s_delay_alu instid0(VALU_DEP_1)
	v_cmpx_gt_u32_e64 s16, v8
	s_cbranch_execz .LBB42_3
; %bb.13:                               ;   in Loop: Header=BB42_4 Depth=1
	v_mov_b32_e32 v9, v1
	s_delay_alu instid0(VALU_DEP_1) | instskip(NEXT) | instid1(VALU_DEP_1)
	v_mul_u64_e32 v[6:7], s[6:7], v[8:9]
	v_lshl_add_u64 v[6:7], v[6:7], 3, s[4:5]
	global_load_b64 v[6:7], v[6:7], off
	s_wait_loadcnt 0x0
	v_bitop3_b32 v10, v6, 0x7fffffff, v7 bitop3:0xc8
	s_delay_alu instid0(VALU_DEP_1)
	v_cmp_ne_u32_e32 vcc_lo, 0, v10
	s_wait_xcnt 0x0
	s_and_b32 exec_lo, exec_lo, vcc_lo
	s_cbranch_execz .LBB42_3
; %bb.14:                               ;   in Loop: Header=BB42_4 Depth=1
	v_mul_u64_e32 v[10:11], s[12:13], v[8:9]
	v_mul_u64_e32 v[8:9], s[2:3], v[8:9]
	v_mov_b32_e32 v14, v7
	s_delay_alu instid0(VALU_DEP_3) | instskip(NEXT) | instid1(VALU_DEP_3)
	v_lshl_add_u64 v[10:11], v[10:11], 3, v[2:3]
	v_lshl_add_u64 v[8:9], v[8:9], 3, v[4:5]
	global_load_b64 v[10:11], v[10:11], off
	global_load_b64 v[12:13], v[8:9], off
	s_wait_loadcnt 0x1
	v_pk_mul_f32 v[14:15], v[10:11], v[14:15] op_sel:[1,0] op_sel_hi:[0,0]
	s_delay_alu instid0(VALU_DEP_1) | instskip(SKIP_1) | instid1(VALU_DEP_2)
	v_pk_fma_f32 v[16:17], v[10:11], v[6:7], v[14:15] op_sel_hi:[1,0,1]
	v_pk_fma_f32 v[6:7], v[10:11], v[6:7], v[14:15] neg_lo:[0,0,1] neg_hi:[0,0,1]
	v_mov_b32_e32 v7, v17
	s_wait_loadcnt 0x0
	s_delay_alu instid0(VALU_DEP_1)
	v_pk_add_f32 v[6:7], v[6:7], v[12:13]
	global_store_b64 v[8:9], v[6:7], off
	s_branch .LBB42_3
.LBB42_15:
	s_endpgm
	.section	.rodata,"a",@progbits
	.p2align	6, 0x0
	.amdhsa_kernel _ZL27rocblas_axpy_kernel_batchedIiLi128ELi8E19rocblas_complex_numIfEPKS1_S3_PS1_EviT3_lT4_lT_lT5_lS7_li
		.amdhsa_group_segment_fixed_size 0
		.amdhsa_private_segment_fixed_size 0
		.amdhsa_kernarg_size 352
		.amdhsa_user_sgpr_count 2
		.amdhsa_user_sgpr_dispatch_ptr 0
		.amdhsa_user_sgpr_queue_ptr 0
		.amdhsa_user_sgpr_kernarg_segment_ptr 1
		.amdhsa_user_sgpr_dispatch_id 0
		.amdhsa_user_sgpr_kernarg_preload_length 0
		.amdhsa_user_sgpr_kernarg_preload_offset 0
		.amdhsa_user_sgpr_private_segment_size 0
		.amdhsa_wavefront_size32 1
		.amdhsa_uses_dynamic_stack 0
		.amdhsa_enable_private_segment 0
		.amdhsa_system_sgpr_workgroup_id_x 1
		.amdhsa_system_sgpr_workgroup_id_y 0
		.amdhsa_system_sgpr_workgroup_id_z 1
		.amdhsa_system_sgpr_workgroup_info 0
		.amdhsa_system_vgpr_workitem_id 1
		.amdhsa_next_free_vgpr 18
		.amdhsa_next_free_sgpr 23
		.amdhsa_named_barrier_count 0
		.amdhsa_reserve_vcc 1
		.amdhsa_float_round_mode_32 0
		.amdhsa_float_round_mode_16_64 0
		.amdhsa_float_denorm_mode_32 3
		.amdhsa_float_denorm_mode_16_64 3
		.amdhsa_fp16_overflow 0
		.amdhsa_memory_ordered 1
		.amdhsa_forward_progress 1
		.amdhsa_inst_pref_size 10
		.amdhsa_round_robin_scheduling 0
		.amdhsa_exception_fp_ieee_invalid_op 0
		.amdhsa_exception_fp_denorm_src 0
		.amdhsa_exception_fp_ieee_div_zero 0
		.amdhsa_exception_fp_ieee_overflow 0
		.amdhsa_exception_fp_ieee_underflow 0
		.amdhsa_exception_fp_ieee_inexact 0
		.amdhsa_exception_int_div_zero 0
	.end_amdhsa_kernel
	.section	.text._ZL27rocblas_axpy_kernel_batchedIiLi128ELi8E19rocblas_complex_numIfEPKS1_S3_PS1_EviT3_lT4_lT_lT5_lS7_li,"axG",@progbits,_ZL27rocblas_axpy_kernel_batchedIiLi128ELi8E19rocblas_complex_numIfEPKS1_S3_PS1_EviT3_lT4_lT_lT5_lS7_li,comdat
.Lfunc_end42:
	.size	_ZL27rocblas_axpy_kernel_batchedIiLi128ELi8E19rocblas_complex_numIfEPKS1_S3_PS1_EviT3_lT4_lT_lT5_lS7_li, .Lfunc_end42-_ZL27rocblas_axpy_kernel_batchedIiLi128ELi8E19rocblas_complex_numIfEPKS1_S3_PS1_EviT3_lT4_lT_lT5_lS7_li
                                        ; -- End function
	.set _ZL27rocblas_axpy_kernel_batchedIiLi128ELi8E19rocblas_complex_numIfEPKS1_S3_PS1_EviT3_lT4_lT_lT5_lS7_li.num_vgpr, 18
	.set _ZL27rocblas_axpy_kernel_batchedIiLi128ELi8E19rocblas_complex_numIfEPKS1_S3_PS1_EviT3_lT4_lT_lT5_lS7_li.num_agpr, 0
	.set _ZL27rocblas_axpy_kernel_batchedIiLi128ELi8E19rocblas_complex_numIfEPKS1_S3_PS1_EviT3_lT4_lT_lT5_lS7_li.numbered_sgpr, 23
	.set _ZL27rocblas_axpy_kernel_batchedIiLi128ELi8E19rocblas_complex_numIfEPKS1_S3_PS1_EviT3_lT4_lT_lT5_lS7_li.num_named_barrier, 0
	.set _ZL27rocblas_axpy_kernel_batchedIiLi128ELi8E19rocblas_complex_numIfEPKS1_S3_PS1_EviT3_lT4_lT_lT5_lS7_li.private_seg_size, 0
	.set _ZL27rocblas_axpy_kernel_batchedIiLi128ELi8E19rocblas_complex_numIfEPKS1_S3_PS1_EviT3_lT4_lT_lT5_lS7_li.uses_vcc, 1
	.set _ZL27rocblas_axpy_kernel_batchedIiLi128ELi8E19rocblas_complex_numIfEPKS1_S3_PS1_EviT3_lT4_lT_lT5_lS7_li.uses_flat_scratch, 0
	.set _ZL27rocblas_axpy_kernel_batchedIiLi128ELi8E19rocblas_complex_numIfEPKS1_S3_PS1_EviT3_lT4_lT_lT5_lS7_li.has_dyn_sized_stack, 0
	.set _ZL27rocblas_axpy_kernel_batchedIiLi128ELi8E19rocblas_complex_numIfEPKS1_S3_PS1_EviT3_lT4_lT_lT5_lS7_li.has_recursion, 0
	.set _ZL27rocblas_axpy_kernel_batchedIiLi128ELi8E19rocblas_complex_numIfEPKS1_S3_PS1_EviT3_lT4_lT_lT5_lS7_li.has_indirect_call, 0
	.section	.AMDGPU.csdata,"",@progbits
; Kernel info:
; codeLenInByte = 1196
; TotalNumSgprs: 25
; NumVgprs: 18
; ScratchSize: 0
; MemoryBound: 0
; FloatMode: 240
; IeeeMode: 1
; LDSByteSize: 0 bytes/workgroup (compile time only)
; SGPRBlocks: 0
; VGPRBlocks: 1
; NumSGPRsForWavesPerEU: 25
; NumVGPRsForWavesPerEU: 18
; NamedBarCnt: 0
; Occupancy: 16
; WaveLimiterHint : 0
; COMPUTE_PGM_RSRC2:SCRATCH_EN: 0
; COMPUTE_PGM_RSRC2:USER_SGPR: 2
; COMPUTE_PGM_RSRC2:TRAP_HANDLER: 0
; COMPUTE_PGM_RSRC2:TGID_X_EN: 1
; COMPUTE_PGM_RSRC2:TGID_Y_EN: 0
; COMPUTE_PGM_RSRC2:TGID_Z_EN: 1
; COMPUTE_PGM_RSRC2:TIDIG_COMP_CNT: 1
	.section	.text._ZL27rocblas_axpy_kernel_batchedIiLi128ELi8E19rocblas_complex_numIfES1_PKS1_PS1_EviT3_lT4_lT_lT5_lS7_li,"axG",@progbits,_ZL27rocblas_axpy_kernel_batchedIiLi128ELi8E19rocblas_complex_numIfES1_PKS1_PS1_EviT3_lT4_lT_lT5_lS7_li,comdat
	.globl	_ZL27rocblas_axpy_kernel_batchedIiLi128ELi8E19rocblas_complex_numIfES1_PKS1_PS1_EviT3_lT4_lT_lT5_lS7_li ; -- Begin function _ZL27rocblas_axpy_kernel_batchedIiLi128ELi8E19rocblas_complex_numIfES1_PKS1_PS1_EviT3_lT4_lT_lT5_lS7_li
	.p2align	8
	.type	_ZL27rocblas_axpy_kernel_batchedIiLi128ELi8E19rocblas_complex_numIfES1_PKS1_PS1_EviT3_lT4_lT_lT5_lS7_li,@function
_ZL27rocblas_axpy_kernel_batchedIiLi128ELi8E19rocblas_complex_numIfES1_PKS1_PS1_EviT3_lT4_lT_lT5_lS7_li: ; @_ZL27rocblas_axpy_kernel_batchedIiLi128ELi8E19rocblas_complex_numIfES1_PKS1_PS1_EviT3_lT4_lT_lT5_lS7_li
; %bb.0:
	s_load_b96 s[8:10], s[0:1], 0x0
	s_bfe_u32 s2, ttmp6, 0x4000c
	s_and_b32 s3, ttmp6, 15
	s_add_co_i32 s4, s2, 1
	s_getreg_b32 s2, hwreg(HW_REG_IB_STS2, 6, 4)
	s_mul_i32 s4, ttmp9, s4
	v_and_b32_e32 v1, 0x3ff, v0
	s_add_co_i32 s3, s3, s4
	s_cmp_eq_u32 s2, 0
	v_mov_b32_e32 v3, 0
	s_cselect_b32 s3, ttmp9, s3
	s_delay_alu instid0(SALU_CYCLE_1) | instskip(SKIP_4) | instid1(SALU_CYCLE_1)
	v_lshl_add_u32 v2, s3, 7, v1
	s_mov_b32 s3, exec_lo
	s_wait_kmcnt 0x0
	s_ashr_i32 s5, s8, 31
	s_mov_b32 s4, s8
	v_cmpx_gt_i64_e64 s[4:5], v[2:3]
	s_cbranch_execz .LBB43_12
; %bb.1:
	s_load_b32 s11, s[0:1], 0x58
	s_bfe_u32 s3, ttmp6, 0x40014
	v_lshrrev_b32_e32 v0, 8, v0
	s_lshr_b32 s4, ttmp7, 16
	s_add_co_i32 s3, s3, 1
	s_bfe_u32 s5, ttmp6, 0x40008
	s_mul_i32 s3, s4, s3
	v_and_b32_e32 v0, 0xffc, v0
	s_add_co_i32 s5, s5, s3
	s_cmp_eq_u32 s2, 0
	s_cselect_b32 s2, s4, s5
	s_delay_alu instid0(VALU_DEP_1) | instid1(SALU_CYCLE_1)
	v_lshl_add_u32 v0, s2, 5, v0
	s_wait_kmcnt 0x0
	s_delay_alu instid0(VALU_DEP_1)
	v_cmp_gt_u32_e32 vcc_lo, s11, v0
	s_and_b32 exec_lo, exec_lo, vcc_lo
	s_cbranch_execz .LBB43_12
; %bb.2:
	s_clause 0x1
	s_load_b32 s2, s[0:1], 0x28
	s_load_b96 s[20:22], s[0:1], 0x40
	v_mov_b32_e32 v1, 0
	s_mov_b32 s12, 0
	s_mov_b32 s8, s9
	s_wait_kmcnt 0x0
	s_ashr_i32 s3, s2, 31
	s_ashr_i32 s5, s22, 31
	s_mov_b32 s4, s22
	v_mul_u64_e32 v[4:5], s[2:3], v[2:3]
	v_mul_u64_e32 v[6:7], s[4:5], v[2:3]
	s_clause 0x3
	s_load_b128 s[16:19], s[0:1], 0x18
	s_load_b128 s[4:7], s[0:1], 0x30
	s_load_b32 s13, s[0:1], 0x68
	s_load_b64 s[2:3], s[0:1], 0x50
	s_wait_xcnt 0x0
	s_or_b32 s0, s9, s10
	s_lshl_b64 s[14:15], s[20:21], 3
	s_and_b32 s22, s0, 0x7fffffff
	s_wait_kmcnt 0x0
	s_lshl_b64 s[0:1], s[18:19], 3
	s_add_nc_u64 s[14:15], s[6:7], s[14:15]
	s_add_nc_u64 s[0:1], s[16:17], s[0:1]
	s_cmp_eq_u32 s22, 0
	s_cselect_b32 s16, -1, 0
	s_cmp_lg_u32 s22, 0
	s_cselect_b32 s6, -1, 0
	s_lshl_b32 s7, s13, 5
	s_delay_alu instid0(VALU_DEP_2) | instskip(NEXT) | instid1(VALU_DEP_2)
	v_lshl_add_u64 v[2:3], v[4:5], 3, s[0:1]
	v_lshl_add_u64 v[4:5], v[6:7], 3, s[14:15]
	s_mov_b32 s0, s10
	s_mov_b32 s1, s10
	s_xor_b32 s10, s16, -1
	s_branch .LBB43_4
.LBB43_3:                               ;   in Loop: Header=BB43_4 Depth=1
	s_wait_xcnt 0x0
	s_or_b32 exec_lo, exec_lo, s13
	v_add_nc_u32_e32 v0, s7, v0
	s_delay_alu instid0(VALU_DEP_1) | instskip(SKIP_1) | instid1(SALU_CYCLE_1)
	v_cmp_le_u32_e32 vcc_lo, s11, v0
	s_or_b32 s12, vcc_lo, s12
	s_and_not1_b32 exec_lo, exec_lo, s12
	s_cbranch_execz .LBB43_12
.LBB43_4:                               ; =>This Inner Loop Header: Depth=1
	s_and_not1_b32 vcc_lo, exec_lo, s6
	s_cbranch_vccnz .LBB43_6
; %bb.5:                                ;   in Loop: Header=BB43_4 Depth=1
	v_mul_u64_e32 v[6:7], s[4:5], v[0:1]
	v_mul_u64_e32 v[8:9], s[2:3], v[0:1]
	v_mov_b64_e32 v[12:13], s[0:1]
	v_mov_b64_e32 v[14:15], s[8:9]
	s_delay_alu instid0(VALU_DEP_4) | instskip(NEXT) | instid1(VALU_DEP_4)
	v_lshl_add_u64 v[6:7], v[6:7], 3, v[2:3]
	v_lshl_add_u64 v[8:9], v[8:9], 3, v[4:5]
	global_load_b64 v[6:7], v[6:7], off
	global_load_b64 v[10:11], v[8:9], off
	s_wait_loadcnt 0x1
	v_pk_mul_f32 v[12:13], v[6:7], v[12:13]
	s_delay_alu instid0(VALU_DEP_1) | instskip(SKIP_2) | instid1(VALU_DEP_2)
	v_pk_fma_f32 v[16:17], v[6:7], v[14:15], v[12:13] op_sel:[0,0,1] op_sel_hi:[1,1,0]
	s_wait_xcnt 0x1
	v_pk_fma_f32 v[6:7], v[6:7], v[14:15], v[12:13] op_sel:[0,0,1] op_sel_hi:[1,1,0] neg_lo:[0,0,1] neg_hi:[0,0,1]
	v_mov_b32_e32 v7, v17
	s_wait_loadcnt 0x0
	s_delay_alu instid0(VALU_DEP_1)
	v_pk_add_f32 v[6:7], v[6:7], v[10:11]
	global_store_b64 v[8:9], v[6:7], off
.LBB43_6:                               ;   in Loop: Header=BB43_4 Depth=1
	s_wait_xcnt 0x0
	v_add_nc_u32_e32 v6, 1, v0
	s_delay_alu instid0(VALU_DEP_1) | instskip(SKIP_1) | instid1(SALU_CYCLE_1)
	v_cmp_gt_u32_e32 vcc_lo, s11, v6
	s_and_b32 s14, vcc_lo, s10
	s_and_saveexec_b32 s13, s14
	s_cbranch_execz .LBB43_8
; %bb.7:                                ;   in Loop: Header=BB43_4 Depth=1
	v_mov_b32_e32 v7, v1
	v_mov_b64_e32 v[12:13], s[0:1]
	v_mov_b64_e32 v[14:15], s[8:9]
	s_delay_alu instid0(VALU_DEP_3) | instskip(NEXT) | instid1(VALU_DEP_1)
	v_mul_u64_e32 v[8:9], s[4:5], v[6:7]
	v_lshl_add_u64 v[8:9], v[8:9], 3, v[2:3]
	global_load_b64 v[8:9], v[8:9], off
	s_wait_loadcnt 0x0
	v_pk_mul_f32 v[12:13], v[8:9], v[12:13]
	s_delay_alu instid0(VALU_DEP_1) | instskip(SKIP_2) | instid1(VALU_DEP_2)
	v_pk_fma_f32 v[16:17], v[8:9], v[14:15], v[12:13] op_sel:[0,0,1] op_sel_hi:[1,1,0]
	s_wait_xcnt 0x0
	v_pk_fma_f32 v[8:9], v[8:9], v[14:15], v[12:13] op_sel:[0,0,1] op_sel_hi:[1,1,0] neg_lo:[0,0,1] neg_hi:[0,0,1]
	v_mov_b32_e32 v9, v17
	v_mul_u64_e32 v[6:7], s[2:3], v[6:7]
	s_delay_alu instid0(VALU_DEP_1)
	v_lshl_add_u64 v[6:7], v[6:7], 3, v[4:5]
	global_load_b64 v[10:11], v[6:7], off
	s_wait_loadcnt 0x0
	v_pk_add_f32 v[8:9], v[8:9], v[10:11]
	global_store_b64 v[6:7], v[8:9], off
.LBB43_8:                               ;   in Loop: Header=BB43_4 Depth=1
	s_wait_xcnt 0x0
	s_or_b32 exec_lo, exec_lo, s13
	v_add_nc_u32_e32 v6, 2, v0
	s_delay_alu instid0(VALU_DEP_1) | instskip(SKIP_1) | instid1(SALU_CYCLE_1)
	v_cmp_gt_u32_e32 vcc_lo, s11, v6
	s_and_b32 s14, vcc_lo, s10
	s_and_saveexec_b32 s13, s14
	s_cbranch_execz .LBB43_10
; %bb.9:                                ;   in Loop: Header=BB43_4 Depth=1
	v_mov_b32_e32 v7, v1
	v_mov_b64_e32 v[12:13], s[0:1]
	v_mov_b64_e32 v[14:15], s[8:9]
	s_delay_alu instid0(VALU_DEP_3) | instskip(NEXT) | instid1(VALU_DEP_1)
	v_mul_u64_e32 v[8:9], s[4:5], v[6:7]
	v_lshl_add_u64 v[8:9], v[8:9], 3, v[2:3]
	global_load_b64 v[8:9], v[8:9], off
	s_wait_loadcnt 0x0
	v_pk_mul_f32 v[12:13], v[8:9], v[12:13]
	s_delay_alu instid0(VALU_DEP_1) | instskip(SKIP_2) | instid1(VALU_DEP_2)
	v_pk_fma_f32 v[16:17], v[8:9], v[14:15], v[12:13] op_sel:[0,0,1] op_sel_hi:[1,1,0]
	s_wait_xcnt 0x0
	v_pk_fma_f32 v[8:9], v[8:9], v[14:15], v[12:13] op_sel:[0,0,1] op_sel_hi:[1,1,0] neg_lo:[0,0,1] neg_hi:[0,0,1]
	v_mov_b32_e32 v9, v17
	v_mul_u64_e32 v[6:7], s[2:3], v[6:7]
	s_delay_alu instid0(VALU_DEP_1)
	v_lshl_add_u64 v[6:7], v[6:7], 3, v[4:5]
	global_load_b64 v[10:11], v[6:7], off
	s_wait_loadcnt 0x0
	v_pk_add_f32 v[8:9], v[8:9], v[10:11]
	global_store_b64 v[6:7], v[8:9], off
.LBB43_10:                              ;   in Loop: Header=BB43_4 Depth=1
	s_wait_xcnt 0x0
	s_or_b32 exec_lo, exec_lo, s13
	v_add_nc_u32_e32 v6, 3, v0
	s_delay_alu instid0(VALU_DEP_1) | instskip(SKIP_1) | instid1(SALU_CYCLE_1)
	v_cmp_gt_u32_e32 vcc_lo, s11, v6
	s_and_b32 s14, vcc_lo, s10
	s_and_saveexec_b32 s13, s14
	s_cbranch_execz .LBB43_3
; %bb.11:                               ;   in Loop: Header=BB43_4 Depth=1
	v_mov_b32_e32 v7, v1
	v_mov_b64_e32 v[12:13], s[0:1]
	v_mov_b64_e32 v[14:15], s[8:9]
	s_delay_alu instid0(VALU_DEP_3) | instskip(NEXT) | instid1(VALU_DEP_1)
	v_mul_u64_e32 v[8:9], s[4:5], v[6:7]
	v_lshl_add_u64 v[8:9], v[8:9], 3, v[2:3]
	global_load_b64 v[8:9], v[8:9], off
	s_wait_loadcnt 0x0
	v_pk_mul_f32 v[12:13], v[8:9], v[12:13]
	s_delay_alu instid0(VALU_DEP_1) | instskip(SKIP_2) | instid1(VALU_DEP_2)
	v_pk_fma_f32 v[16:17], v[8:9], v[14:15], v[12:13] op_sel:[0,0,1] op_sel_hi:[1,1,0]
	s_wait_xcnt 0x0
	v_pk_fma_f32 v[8:9], v[8:9], v[14:15], v[12:13] op_sel:[0,0,1] op_sel_hi:[1,1,0] neg_lo:[0,0,1] neg_hi:[0,0,1]
	v_mov_b32_e32 v9, v17
	v_mul_u64_e32 v[6:7], s[2:3], v[6:7]
	s_delay_alu instid0(VALU_DEP_1)
	v_lshl_add_u64 v[6:7], v[6:7], 3, v[4:5]
	global_load_b64 v[10:11], v[6:7], off
	s_wait_loadcnt 0x0
	v_pk_add_f32 v[8:9], v[8:9], v[10:11]
	global_store_b64 v[6:7], v[8:9], off
	s_branch .LBB43_3
.LBB43_12:
	s_endpgm
	.section	.rodata,"a",@progbits
	.p2align	6, 0x0
	.amdhsa_kernel _ZL27rocblas_axpy_kernel_batchedIiLi128ELi8E19rocblas_complex_numIfES1_PKS1_PS1_EviT3_lT4_lT_lT5_lS7_li
		.amdhsa_group_segment_fixed_size 0
		.amdhsa_private_segment_fixed_size 0
		.amdhsa_kernarg_size 352
		.amdhsa_user_sgpr_count 2
		.amdhsa_user_sgpr_dispatch_ptr 0
		.amdhsa_user_sgpr_queue_ptr 0
		.amdhsa_user_sgpr_kernarg_segment_ptr 1
		.amdhsa_user_sgpr_dispatch_id 0
		.amdhsa_user_sgpr_kernarg_preload_length 0
		.amdhsa_user_sgpr_kernarg_preload_offset 0
		.amdhsa_user_sgpr_private_segment_size 0
		.amdhsa_wavefront_size32 1
		.amdhsa_uses_dynamic_stack 0
		.amdhsa_enable_private_segment 0
		.amdhsa_system_sgpr_workgroup_id_x 1
		.amdhsa_system_sgpr_workgroup_id_y 0
		.amdhsa_system_sgpr_workgroup_id_z 1
		.amdhsa_system_sgpr_workgroup_info 0
		.amdhsa_system_vgpr_workitem_id 1
		.amdhsa_next_free_vgpr 18
		.amdhsa_next_free_sgpr 23
		.amdhsa_named_barrier_count 0
		.amdhsa_reserve_vcc 1
		.amdhsa_float_round_mode_32 0
		.amdhsa_float_round_mode_16_64 0
		.amdhsa_float_denorm_mode_32 3
		.amdhsa_float_denorm_mode_16_64 3
		.amdhsa_fp16_overflow 0
		.amdhsa_memory_ordered 1
		.amdhsa_forward_progress 1
		.amdhsa_inst_pref_size 9
		.amdhsa_round_robin_scheduling 0
		.amdhsa_exception_fp_ieee_invalid_op 0
		.amdhsa_exception_fp_denorm_src 0
		.amdhsa_exception_fp_ieee_div_zero 0
		.amdhsa_exception_fp_ieee_overflow 0
		.amdhsa_exception_fp_ieee_underflow 0
		.amdhsa_exception_fp_ieee_inexact 0
		.amdhsa_exception_int_div_zero 0
	.end_amdhsa_kernel
	.section	.text._ZL27rocblas_axpy_kernel_batchedIiLi128ELi8E19rocblas_complex_numIfES1_PKS1_PS1_EviT3_lT4_lT_lT5_lS7_li,"axG",@progbits,_ZL27rocblas_axpy_kernel_batchedIiLi128ELi8E19rocblas_complex_numIfES1_PKS1_PS1_EviT3_lT4_lT_lT5_lS7_li,comdat
.Lfunc_end43:
	.size	_ZL27rocblas_axpy_kernel_batchedIiLi128ELi8E19rocblas_complex_numIfES1_PKS1_PS1_EviT3_lT4_lT_lT5_lS7_li, .Lfunc_end43-_ZL27rocblas_axpy_kernel_batchedIiLi128ELi8E19rocblas_complex_numIfES1_PKS1_PS1_EviT3_lT4_lT_lT5_lS7_li
                                        ; -- End function
	.set _ZL27rocblas_axpy_kernel_batchedIiLi128ELi8E19rocblas_complex_numIfES1_PKS1_PS1_EviT3_lT4_lT_lT5_lS7_li.num_vgpr, 18
	.set _ZL27rocblas_axpy_kernel_batchedIiLi128ELi8E19rocblas_complex_numIfES1_PKS1_PS1_EviT3_lT4_lT_lT5_lS7_li.num_agpr, 0
	.set _ZL27rocblas_axpy_kernel_batchedIiLi128ELi8E19rocblas_complex_numIfES1_PKS1_PS1_EviT3_lT4_lT_lT5_lS7_li.numbered_sgpr, 23
	.set _ZL27rocblas_axpy_kernel_batchedIiLi128ELi8E19rocblas_complex_numIfES1_PKS1_PS1_EviT3_lT4_lT_lT5_lS7_li.num_named_barrier, 0
	.set _ZL27rocblas_axpy_kernel_batchedIiLi128ELi8E19rocblas_complex_numIfES1_PKS1_PS1_EviT3_lT4_lT_lT5_lS7_li.private_seg_size, 0
	.set _ZL27rocblas_axpy_kernel_batchedIiLi128ELi8E19rocblas_complex_numIfES1_PKS1_PS1_EviT3_lT4_lT_lT5_lS7_li.uses_vcc, 1
	.set _ZL27rocblas_axpy_kernel_batchedIiLi128ELi8E19rocblas_complex_numIfES1_PKS1_PS1_EviT3_lT4_lT_lT5_lS7_li.uses_flat_scratch, 0
	.set _ZL27rocblas_axpy_kernel_batchedIiLi128ELi8E19rocblas_complex_numIfES1_PKS1_PS1_EviT3_lT4_lT_lT5_lS7_li.has_dyn_sized_stack, 0
	.set _ZL27rocblas_axpy_kernel_batchedIiLi128ELi8E19rocblas_complex_numIfES1_PKS1_PS1_EviT3_lT4_lT_lT5_lS7_li.has_recursion, 0
	.set _ZL27rocblas_axpy_kernel_batchedIiLi128ELi8E19rocblas_complex_numIfES1_PKS1_PS1_EviT3_lT4_lT_lT5_lS7_li.has_indirect_call, 0
	.section	.AMDGPU.csdata,"",@progbits
; Kernel info:
; codeLenInByte = 1036
; TotalNumSgprs: 25
; NumVgprs: 18
; ScratchSize: 0
; MemoryBound: 0
; FloatMode: 240
; IeeeMode: 1
; LDSByteSize: 0 bytes/workgroup (compile time only)
; SGPRBlocks: 0
; VGPRBlocks: 1
; NumSGPRsForWavesPerEU: 25
; NumVGPRsForWavesPerEU: 18
; NamedBarCnt: 0
; Occupancy: 16
; WaveLimiterHint : 0
; COMPUTE_PGM_RSRC2:SCRATCH_EN: 0
; COMPUTE_PGM_RSRC2:USER_SGPR: 2
; COMPUTE_PGM_RSRC2:TRAP_HANDLER: 0
; COMPUTE_PGM_RSRC2:TGID_X_EN: 1
; COMPUTE_PGM_RSRC2:TGID_Y_EN: 0
; COMPUTE_PGM_RSRC2:TGID_Z_EN: 1
; COMPUTE_PGM_RSRC2:TIDIG_COMP_CNT: 1
	.section	.text._ZL19rocblas_axpy_kernelIiLi256E19rocblas_complex_numIfEPKS1_S3_PS1_EviT2_lT3_lT_lT4_lS7_li,"axG",@progbits,_ZL19rocblas_axpy_kernelIiLi256E19rocblas_complex_numIfEPKS1_S3_PS1_EviT2_lT3_lT_lT4_lS7_li,comdat
	.globl	_ZL19rocblas_axpy_kernelIiLi256E19rocblas_complex_numIfEPKS1_S3_PS1_EviT2_lT3_lT_lT4_lS7_li ; -- Begin function _ZL19rocblas_axpy_kernelIiLi256E19rocblas_complex_numIfEPKS1_S3_PS1_EviT2_lT3_lT_lT4_lS7_li
	.p2align	8
	.type	_ZL19rocblas_axpy_kernelIiLi256E19rocblas_complex_numIfEPKS1_S3_PS1_EviT2_lT3_lT_lT4_lS7_li,@function
_ZL19rocblas_axpy_kernelIiLi256E19rocblas_complex_numIfEPKS1_S3_PS1_EviT2_lT3_lT_lT4_lS7_li: ; @_ZL19rocblas_axpy_kernelIiLi256E19rocblas_complex_numIfEPKS1_S3_PS1_EviT2_lT3_lT_lT4_lS7_li
; %bb.0:
	s_load_b32 s18, s[0:1], 0x58
	s_bfe_u32 s2, ttmp6, 0x40014
	s_lshr_b32 s3, ttmp7, 16
	s_add_co_i32 s2, s2, 1
	s_bfe_u32 s4, ttmp6, 0x40008
	s_mul_i32 s2, s3, s2
	s_getreg_b32 s12, hwreg(HW_REG_IB_STS2, 6, 4)
	s_add_co_i32 s4, s4, s2
	s_cmp_eq_u32 s12, 0
	s_cselect_b32 s2, s3, s4
	s_mov_b32 s3, 0
	s_wait_kmcnt 0x0
	s_cmp_ge_u32 s2, s18
	s_cbranch_scc1 .LBB44_5
; %bb.1:
	s_clause 0x3
	s_load_b32 s24, s[0:1], 0x0
	s_load_b32 s14, s[0:1], 0x28
	s_load_b96 s[20:22], s[0:1], 0x40
	s_load_b256 s[4:11], s[0:1], 0x8
	s_bfe_u32 s13, ttmp6, 0x4000c
	s_and_b32 s15, ttmp6, 15
	s_add_co_i32 s13, s13, 1
	v_mov_b32_e32 v1, 0
	s_mul_i32 s13, ttmp9, s13
	s_load_b64 s[16:17], s[0:1], 0x50
	s_add_co_i32 s19, s15, s13
	s_wait_kmcnt 0x0
	s_ashr_i32 s25, s24, 31
	s_ashr_i32 s15, s14, 31
	;; [unrolled: 1-line block ×3, first 2 shown]
	s_lshl_b64 s[20:21], s[20:21], 3
	s_lshl_b64 s[10:11], s[10:11], 3
	s_cmp_eq_u32 s12, 0
	s_add_nc_u64 s[8:9], s[8:9], s[10:11]
	s_cselect_b32 s12, ttmp9, s19
	s_delay_alu instid0(SALU_CYCLE_1) | instskip(SKIP_1) | instid1(VALU_DEP_1)
	v_lshl_or_b32 v0, s12, 8, v0
	s_mov_b32 s12, s22
	v_mul_u64_e32 v[2:3], s[14:15], v[0:1]
	v_mul_u64_e32 v[4:5], s[12:13], v[0:1]
	s_load_b128 s[12:15], s[0:1], 0x30
	v_cmp_gt_i64_e32 vcc_lo, s[24:25], v[0:1]
	s_wait_kmcnt 0x0
	s_add_nc_u64 s[0:1], s[14:15], s[20:21]
	s_delay_alu instid0(VALU_DEP_3) | instskip(NEXT) | instid1(VALU_DEP_3)
	v_lshl_add_u64 v[0:1], v[2:3], 3, s[8:9]
	v_lshl_add_u64 v[2:3], v[4:5], 3, s[0:1]
	s_branch .LBB44_3
.LBB44_2:                               ;   in Loop: Header=BB44_3 Depth=1
	s_wait_xcnt 0x0
	s_or_b32 exec_lo, exec_lo, s8
	s_add_co_i32 s2, s2, 0x10000
	s_delay_alu instid0(SALU_CYCLE_1)
	s_cmp_lt_u32 s2, s18
	s_cbranch_scc0 .LBB44_5
.LBB44_3:                               ; =>This Inner Loop Header: Depth=1
	s_mul_u64 s[0:1], s[6:7], s[2:3]
	s_delay_alu instid0(SALU_CYCLE_1) | instskip(NEXT) | instid1(SALU_CYCLE_1)
	s_lshl_b64 s[0:1], s[0:1], 3
	s_add_nc_u64 s[8:9], s[4:5], s[0:1]
	s_load_b64 s[0:1], s[8:9], 0x0
	s_wait_kmcnt 0x0
	s_wait_xcnt 0x0
	s_or_b32 s8, s0, s1
	s_delay_alu instid0(SALU_CYCLE_1) | instskip(NEXT) | instid1(SALU_CYCLE_1)
	s_bitset0_b32 s8, 31
	s_cmp_lg_u32 s8, 0
	s_cselect_b32 s8, -1, 0
	s_delay_alu instid0(SALU_CYCLE_1) | instskip(NEXT) | instid1(SALU_CYCLE_1)
	s_and_b32 s9, vcc_lo, s8
	s_and_saveexec_b32 s8, s9
	s_cbranch_execz .LBB44_2
; %bb.4:                                ;   in Loop: Header=BB44_3 Depth=1
	s_mul_u64 s[10:11], s[12:13], s[2:3]
	s_delay_alu instid0(SALU_CYCLE_1) | instskip(SKIP_1) | instid1(SALU_CYCLE_1)
	v_lshl_add_u64 v[4:5], s[10:11], 3, v[0:1]
	s_mul_u64 s[10:11], s[16:17], s[2:3]
	v_lshl_add_u64 v[6:7], s[10:11], 3, v[2:3]
	s_mov_b32 s10, s1
	global_load_b64 v[4:5], v[4:5], off
	global_load_b64 v[8:9], v[6:7], off
	s_wait_loadcnt 0x1
	v_pk_mul_f32 v[10:11], v[4:5], s[10:11] op_sel:[1,0] op_sel_hi:[0,0]
	s_delay_alu instid0(VALU_DEP_1) | instskip(SKIP_2) | instid1(VALU_DEP_1)
	v_pk_fma_f32 v[14:15], v[4:5], s[0:1], v[10:11] op_sel_hi:[1,0,1]
	v_mov_b32_e32 v12, s0
	s_wait_xcnt 0x1
	v_pk_fma_f32 v[4:5], v[4:5], v[12:13], v[10:11] neg_lo:[0,0,1] neg_hi:[0,0,1]
	s_delay_alu instid0(VALU_DEP_3) | instskip(SKIP_1) | instid1(VALU_DEP_1)
	v_mov_b32_e32 v5, v15
	s_wait_loadcnt 0x0
	v_pk_add_f32 v[4:5], v[4:5], v[8:9]
	global_store_b64 v[6:7], v[4:5], off
	s_branch .LBB44_2
.LBB44_5:
	s_endpgm
	.section	.rodata,"a",@progbits
	.p2align	6, 0x0
	.amdhsa_kernel _ZL19rocblas_axpy_kernelIiLi256E19rocblas_complex_numIfEPKS1_S3_PS1_EviT2_lT3_lT_lT4_lS7_li
		.amdhsa_group_segment_fixed_size 0
		.amdhsa_private_segment_fixed_size 0
		.amdhsa_kernarg_size 92
		.amdhsa_user_sgpr_count 2
		.amdhsa_user_sgpr_dispatch_ptr 0
		.amdhsa_user_sgpr_queue_ptr 0
		.amdhsa_user_sgpr_kernarg_segment_ptr 1
		.amdhsa_user_sgpr_dispatch_id 0
		.amdhsa_user_sgpr_kernarg_preload_length 0
		.amdhsa_user_sgpr_kernarg_preload_offset 0
		.amdhsa_user_sgpr_private_segment_size 0
		.amdhsa_wavefront_size32 1
		.amdhsa_uses_dynamic_stack 0
		.amdhsa_enable_private_segment 0
		.amdhsa_system_sgpr_workgroup_id_x 1
		.amdhsa_system_sgpr_workgroup_id_y 0
		.amdhsa_system_sgpr_workgroup_id_z 1
		.amdhsa_system_sgpr_workgroup_info 0
		.amdhsa_system_vgpr_workitem_id 0
		.amdhsa_next_free_vgpr 16
		.amdhsa_next_free_sgpr 26
		.amdhsa_named_barrier_count 0
		.amdhsa_reserve_vcc 1
		.amdhsa_float_round_mode_32 0
		.amdhsa_float_round_mode_16_64 0
		.amdhsa_float_denorm_mode_32 3
		.amdhsa_float_denorm_mode_16_64 3
		.amdhsa_fp16_overflow 0
		.amdhsa_memory_ordered 1
		.amdhsa_forward_progress 1
		.amdhsa_inst_pref_size 4
		.amdhsa_round_robin_scheduling 0
		.amdhsa_exception_fp_ieee_invalid_op 0
		.amdhsa_exception_fp_denorm_src 0
		.amdhsa_exception_fp_ieee_div_zero 0
		.amdhsa_exception_fp_ieee_overflow 0
		.amdhsa_exception_fp_ieee_underflow 0
		.amdhsa_exception_fp_ieee_inexact 0
		.amdhsa_exception_int_div_zero 0
	.end_amdhsa_kernel
	.section	.text._ZL19rocblas_axpy_kernelIiLi256E19rocblas_complex_numIfEPKS1_S3_PS1_EviT2_lT3_lT_lT4_lS7_li,"axG",@progbits,_ZL19rocblas_axpy_kernelIiLi256E19rocblas_complex_numIfEPKS1_S3_PS1_EviT2_lT3_lT_lT4_lS7_li,comdat
.Lfunc_end44:
	.size	_ZL19rocblas_axpy_kernelIiLi256E19rocblas_complex_numIfEPKS1_S3_PS1_EviT2_lT3_lT_lT4_lS7_li, .Lfunc_end44-_ZL19rocblas_axpy_kernelIiLi256E19rocblas_complex_numIfEPKS1_S3_PS1_EviT2_lT3_lT_lT4_lS7_li
                                        ; -- End function
	.set _ZL19rocblas_axpy_kernelIiLi256E19rocblas_complex_numIfEPKS1_S3_PS1_EviT2_lT3_lT_lT4_lS7_li.num_vgpr, 16
	.set _ZL19rocblas_axpy_kernelIiLi256E19rocblas_complex_numIfEPKS1_S3_PS1_EviT2_lT3_lT_lT4_lS7_li.num_agpr, 0
	.set _ZL19rocblas_axpy_kernelIiLi256E19rocblas_complex_numIfEPKS1_S3_PS1_EviT2_lT3_lT_lT4_lS7_li.numbered_sgpr, 26
	.set _ZL19rocblas_axpy_kernelIiLi256E19rocblas_complex_numIfEPKS1_S3_PS1_EviT2_lT3_lT_lT4_lS7_li.num_named_barrier, 0
	.set _ZL19rocblas_axpy_kernelIiLi256E19rocblas_complex_numIfEPKS1_S3_PS1_EviT2_lT3_lT_lT4_lS7_li.private_seg_size, 0
	.set _ZL19rocblas_axpy_kernelIiLi256E19rocblas_complex_numIfEPKS1_S3_PS1_EviT2_lT3_lT_lT4_lS7_li.uses_vcc, 1
	.set _ZL19rocblas_axpy_kernelIiLi256E19rocblas_complex_numIfEPKS1_S3_PS1_EviT2_lT3_lT_lT4_lS7_li.uses_flat_scratch, 0
	.set _ZL19rocblas_axpy_kernelIiLi256E19rocblas_complex_numIfEPKS1_S3_PS1_EviT2_lT3_lT_lT4_lS7_li.has_dyn_sized_stack, 0
	.set _ZL19rocblas_axpy_kernelIiLi256E19rocblas_complex_numIfEPKS1_S3_PS1_EviT2_lT3_lT_lT4_lS7_li.has_recursion, 0
	.set _ZL19rocblas_axpy_kernelIiLi256E19rocblas_complex_numIfEPKS1_S3_PS1_EviT2_lT3_lT_lT4_lS7_li.has_indirect_call, 0
	.section	.AMDGPU.csdata,"",@progbits
; Kernel info:
; codeLenInByte = 476
; TotalNumSgprs: 28
; NumVgprs: 16
; ScratchSize: 0
; MemoryBound: 0
; FloatMode: 240
; IeeeMode: 1
; LDSByteSize: 0 bytes/workgroup (compile time only)
; SGPRBlocks: 0
; VGPRBlocks: 0
; NumSGPRsForWavesPerEU: 28
; NumVGPRsForWavesPerEU: 16
; NamedBarCnt: 0
; Occupancy: 16
; WaveLimiterHint : 0
; COMPUTE_PGM_RSRC2:SCRATCH_EN: 0
; COMPUTE_PGM_RSRC2:USER_SGPR: 2
; COMPUTE_PGM_RSRC2:TRAP_HANDLER: 0
; COMPUTE_PGM_RSRC2:TGID_X_EN: 1
; COMPUTE_PGM_RSRC2:TGID_Y_EN: 0
; COMPUTE_PGM_RSRC2:TGID_Z_EN: 1
; COMPUTE_PGM_RSRC2:TIDIG_COMP_CNT: 0
	.section	.text._ZL19rocblas_axpy_kernelIiLi256E19rocblas_complex_numIfES1_PKS1_PS1_EviT2_lT3_lT_lT4_lS7_li,"axG",@progbits,_ZL19rocblas_axpy_kernelIiLi256E19rocblas_complex_numIfES1_PKS1_PS1_EviT2_lT3_lT_lT4_lS7_li,comdat
	.globl	_ZL19rocblas_axpy_kernelIiLi256E19rocblas_complex_numIfES1_PKS1_PS1_EviT2_lT3_lT_lT4_lS7_li ; -- Begin function _ZL19rocblas_axpy_kernelIiLi256E19rocblas_complex_numIfES1_PKS1_PS1_EviT2_lT3_lT_lT4_lS7_li
	.p2align	8
	.type	_ZL19rocblas_axpy_kernelIiLi256E19rocblas_complex_numIfES1_PKS1_PS1_EviT2_lT3_lT_lT4_lS7_li,@function
_ZL19rocblas_axpy_kernelIiLi256E19rocblas_complex_numIfES1_PKS1_PS1_EviT2_lT3_lT_lT4_lS7_li: ; @_ZL19rocblas_axpy_kernelIiLi256E19rocblas_complex_numIfES1_PKS1_PS1_EviT2_lT3_lT_lT4_lS7_li
; %bb.0:
	s_load_b32 s12, s[0:1], 0x58
	s_bfe_u32 s2, ttmp6, 0x40014
	s_lshr_b32 s3, ttmp7, 16
	s_add_co_i32 s2, s2, 1
	s_bfe_u32 s5, ttmp6, 0x40008
	s_mul_i32 s2, s3, s2
	s_getreg_b32 s4, hwreg(HW_REG_IB_STS2, 6, 4)
	s_add_co_i32 s5, s5, s2
	s_cmp_eq_u32 s4, 0
	s_cselect_b32 s2, s3, s5
	s_mov_b32 s3, 0
	s_wait_kmcnt 0x0
	s_cmp_ge_u32 s2, s12
	s_cbranch_scc1 .LBB45_5
; %bb.1:
	s_clause 0x3
	s_load_b32 s14, s[0:1], 0x0
	s_load_b32 s6, s[0:1], 0x28
	s_load_b96 s[20:22], s[0:1], 0x40
	s_load_b128 s[16:19], s[0:1], 0x18
	s_bfe_u32 s5, ttmp6, 0x4000c
	s_and_b32 s7, ttmp6, 15
	s_add_co_i32 s5, s5, 1
	v_mov_b32_e32 v1, 0
	s_mul_i32 s5, ttmp9, s5
	s_load_b64 s[8:9], s[0:1], 0x4
	s_add_co_i32 s10, s7, s5
	s_wait_kmcnt 0x0
	s_ashr_i32 s15, s14, 31
	s_ashr_i32 s7, s6, 31
	;; [unrolled: 1-line block ×3, first 2 shown]
	s_lshl_b64 s[20:21], s[20:21], 3
	s_lshl_b64 s[18:19], s[18:19], 3
	s_cmp_eq_u32 s4, 0
	s_cselect_b32 s4, ttmp9, s10
	s_delay_alu instid0(SALU_CYCLE_1) | instskip(SKIP_1) | instid1(VALU_DEP_1)
	v_lshl_or_b32 v0, s4, 8, v0
	s_mov_b32 s4, s22
	v_mul_u64_e32 v[2:3], s[6:7], v[0:1]
	v_mul_u64_e32 v[4:5], s[4:5], v[0:1]
	s_clause 0x1
	s_load_b128 s[4:7], s[0:1], 0x30
	s_load_b64 s[10:11], s[0:1], 0x50
	s_wait_xcnt 0x0
	s_or_b32 s0, s8, s9
	v_cmp_gt_i64_e32 vcc_lo, s[14:15], v[0:1]
	s_bitset0_b32 s0, 31
	s_add_nc_u64 s[14:15], s[16:17], s[18:19]
	s_cmp_lg_u32 s0, 0
	s_wait_kmcnt 0x0
	s_add_nc_u64 s[0:1], s[6:7], s[20:21]
	s_cselect_b32 s6, -1, 0
	s_delay_alu instid0(SALU_CYCLE_1) | instskip(NEXT) | instid1(VALU_DEP_3)
	s_and_b32 s6, vcc_lo, s6
	v_lshl_add_u64 v[0:1], v[2:3], 3, s[14:15]
	s_delay_alu instid0(VALU_DEP_3)
	v_lshl_add_u64 v[2:3], v[4:5], 3, s[0:1]
	s_mov_b32 s0, s8
	s_mov_b32 s1, s8
	s_mov_b32 s8, s9
	s_branch .LBB45_3
.LBB45_2:                               ;   in Loop: Header=BB45_3 Depth=1
	s_wait_xcnt 0x0
	s_or_b32 exec_lo, exec_lo, s7
	s_add_co_i32 s2, s2, 0x10000
	s_delay_alu instid0(SALU_CYCLE_1)
	s_cmp_lt_u32 s2, s12
	s_cbranch_scc0 .LBB45_5
.LBB45_3:                               ; =>This Inner Loop Header: Depth=1
	s_and_saveexec_b32 s7, s6
	s_cbranch_execz .LBB45_2
; %bb.4:                                ;   in Loop: Header=BB45_3 Depth=1
	s_mul_u64 s[14:15], s[4:5], s[2:3]
	v_mov_b64_e32 v[10:11], s[8:9]
	v_lshl_add_u64 v[4:5], s[14:15], 3, v[0:1]
	s_mul_u64 s[14:15], s[10:11], s[2:3]
	v_mov_b64_e32 v[12:13], s[0:1]
	v_lshl_add_u64 v[6:7], s[14:15], 3, v[2:3]
	global_load_b64 v[4:5], v[4:5], off
	global_load_b64 v[8:9], v[6:7], off
	s_wait_loadcnt 0x1
	v_pk_mul_f32 v[10:11], v[4:5], v[10:11] op_sel:[1,0] op_sel_hi:[0,1]
	s_delay_alu instid0(VALU_DEP_1) | instskip(SKIP_2) | instid1(VALU_DEP_2)
	v_pk_fma_f32 v[14:15], v[4:5], v[12:13], v[10:11]
	s_wait_xcnt 0x1
	v_pk_fma_f32 v[4:5], v[4:5], v[12:13], v[10:11] neg_lo:[0,0,1] neg_hi:[0,0,1]
	v_mov_b32_e32 v5, v15
	s_wait_loadcnt 0x0
	s_delay_alu instid0(VALU_DEP_1)
	v_pk_add_f32 v[4:5], v[4:5], v[8:9]
	global_store_b64 v[6:7], v[4:5], off
	s_branch .LBB45_2
.LBB45_5:
	s_endpgm
	.section	.rodata,"a",@progbits
	.p2align	6, 0x0
	.amdhsa_kernel _ZL19rocblas_axpy_kernelIiLi256E19rocblas_complex_numIfES1_PKS1_PS1_EviT2_lT3_lT_lT4_lS7_li
		.amdhsa_group_segment_fixed_size 0
		.amdhsa_private_segment_fixed_size 0
		.amdhsa_kernarg_size 92
		.amdhsa_user_sgpr_count 2
		.amdhsa_user_sgpr_dispatch_ptr 0
		.amdhsa_user_sgpr_queue_ptr 0
		.amdhsa_user_sgpr_kernarg_segment_ptr 1
		.amdhsa_user_sgpr_dispatch_id 0
		.amdhsa_user_sgpr_kernarg_preload_length 0
		.amdhsa_user_sgpr_kernarg_preload_offset 0
		.amdhsa_user_sgpr_private_segment_size 0
		.amdhsa_wavefront_size32 1
		.amdhsa_uses_dynamic_stack 0
		.amdhsa_enable_private_segment 0
		.amdhsa_system_sgpr_workgroup_id_x 1
		.amdhsa_system_sgpr_workgroup_id_y 0
		.amdhsa_system_sgpr_workgroup_id_z 1
		.amdhsa_system_sgpr_workgroup_info 0
		.amdhsa_system_vgpr_workitem_id 0
		.amdhsa_next_free_vgpr 16
		.amdhsa_next_free_sgpr 23
		.amdhsa_named_barrier_count 0
		.amdhsa_reserve_vcc 1
		.amdhsa_float_round_mode_32 0
		.amdhsa_float_round_mode_16_64 0
		.amdhsa_float_denorm_mode_32 3
		.amdhsa_float_denorm_mode_16_64 3
		.amdhsa_fp16_overflow 0
		.amdhsa_memory_ordered 1
		.amdhsa_forward_progress 1
		.amdhsa_inst_pref_size 4
		.amdhsa_round_robin_scheduling 0
		.amdhsa_exception_fp_ieee_invalid_op 0
		.amdhsa_exception_fp_denorm_src 0
		.amdhsa_exception_fp_ieee_div_zero 0
		.amdhsa_exception_fp_ieee_overflow 0
		.amdhsa_exception_fp_ieee_underflow 0
		.amdhsa_exception_fp_ieee_inexact 0
		.amdhsa_exception_int_div_zero 0
	.end_amdhsa_kernel
	.section	.text._ZL19rocblas_axpy_kernelIiLi256E19rocblas_complex_numIfES1_PKS1_PS1_EviT2_lT3_lT_lT4_lS7_li,"axG",@progbits,_ZL19rocblas_axpy_kernelIiLi256E19rocblas_complex_numIfES1_PKS1_PS1_EviT2_lT3_lT_lT4_lS7_li,comdat
.Lfunc_end45:
	.size	_ZL19rocblas_axpy_kernelIiLi256E19rocblas_complex_numIfES1_PKS1_PS1_EviT2_lT3_lT_lT4_lS7_li, .Lfunc_end45-_ZL19rocblas_axpy_kernelIiLi256E19rocblas_complex_numIfES1_PKS1_PS1_EviT2_lT3_lT_lT4_lS7_li
                                        ; -- End function
	.set _ZL19rocblas_axpy_kernelIiLi256E19rocblas_complex_numIfES1_PKS1_PS1_EviT2_lT3_lT_lT4_lS7_li.num_vgpr, 16
	.set _ZL19rocblas_axpy_kernelIiLi256E19rocblas_complex_numIfES1_PKS1_PS1_EviT2_lT3_lT_lT4_lS7_li.num_agpr, 0
	.set _ZL19rocblas_axpy_kernelIiLi256E19rocblas_complex_numIfES1_PKS1_PS1_EviT2_lT3_lT_lT4_lS7_li.numbered_sgpr, 23
	.set _ZL19rocblas_axpy_kernelIiLi256E19rocblas_complex_numIfES1_PKS1_PS1_EviT2_lT3_lT_lT4_lS7_li.num_named_barrier, 0
	.set _ZL19rocblas_axpy_kernelIiLi256E19rocblas_complex_numIfES1_PKS1_PS1_EviT2_lT3_lT_lT4_lS7_li.private_seg_size, 0
	.set _ZL19rocblas_axpy_kernelIiLi256E19rocblas_complex_numIfES1_PKS1_PS1_EviT2_lT3_lT_lT4_lS7_li.uses_vcc, 1
	.set _ZL19rocblas_axpy_kernelIiLi256E19rocblas_complex_numIfES1_PKS1_PS1_EviT2_lT3_lT_lT4_lS7_li.uses_flat_scratch, 0
	.set _ZL19rocblas_axpy_kernelIiLi256E19rocblas_complex_numIfES1_PKS1_PS1_EviT2_lT3_lT_lT4_lS7_li.has_dyn_sized_stack, 0
	.set _ZL19rocblas_axpy_kernelIiLi256E19rocblas_complex_numIfES1_PKS1_PS1_EviT2_lT3_lT_lT4_lS7_li.has_recursion, 0
	.set _ZL19rocblas_axpy_kernelIiLi256E19rocblas_complex_numIfES1_PKS1_PS1_EviT2_lT3_lT_lT4_lS7_li.has_indirect_call, 0
	.section	.AMDGPU.csdata,"",@progbits
; Kernel info:
; codeLenInByte = 464
; TotalNumSgprs: 25
; NumVgprs: 16
; ScratchSize: 0
; MemoryBound: 0
; FloatMode: 240
; IeeeMode: 1
; LDSByteSize: 0 bytes/workgroup (compile time only)
; SGPRBlocks: 0
; VGPRBlocks: 0
; NumSGPRsForWavesPerEU: 25
; NumVGPRsForWavesPerEU: 16
; NamedBarCnt: 0
; Occupancy: 16
; WaveLimiterHint : 1
; COMPUTE_PGM_RSRC2:SCRATCH_EN: 0
; COMPUTE_PGM_RSRC2:USER_SGPR: 2
; COMPUTE_PGM_RSRC2:TRAP_HANDLER: 0
; COMPUTE_PGM_RSRC2:TGID_X_EN: 1
; COMPUTE_PGM_RSRC2:TGID_Y_EN: 0
; COMPUTE_PGM_RSRC2:TGID_Z_EN: 1
; COMPUTE_PGM_RSRC2:TIDIG_COMP_CNT: 0
	.section	.text._ZL19rocblas_axpy_kernelIlLi256E19rocblas_complex_numIfEPKS1_S3_PS1_EviT2_lT3_lT_lT4_lS7_li,"axG",@progbits,_ZL19rocblas_axpy_kernelIlLi256E19rocblas_complex_numIfEPKS1_S3_PS1_EviT2_lT3_lT_lT4_lS7_li,comdat
	.globl	_ZL19rocblas_axpy_kernelIlLi256E19rocblas_complex_numIfEPKS1_S3_PS1_EviT2_lT3_lT_lT4_lS7_li ; -- Begin function _ZL19rocblas_axpy_kernelIlLi256E19rocblas_complex_numIfEPKS1_S3_PS1_EviT2_lT3_lT_lT4_lS7_li
	.p2align	8
	.type	_ZL19rocblas_axpy_kernelIlLi256E19rocblas_complex_numIfEPKS1_S3_PS1_EviT2_lT3_lT_lT4_lS7_li,@function
_ZL19rocblas_axpy_kernelIlLi256E19rocblas_complex_numIfEPKS1_S3_PS1_EviT2_lT3_lT_lT4_lS7_li: ; @_ZL19rocblas_axpy_kernelIlLi256E19rocblas_complex_numIfEPKS1_S3_PS1_EviT2_lT3_lT_lT4_lS7_li
; %bb.0:
	s_load_b32 s16, s[0:1], 0x58
	s_bfe_u32 s2, ttmp6, 0x40014
	s_lshr_b32 s3, ttmp7, 16
	s_add_co_i32 s2, s2, 1
	s_bfe_u32 s4, ttmp6, 0x40008
	s_mul_i32 s2, s3, s2
	s_getreg_b32 s17, hwreg(HW_REG_IB_STS2, 6, 4)
	s_add_co_i32 s4, s4, s2
	s_cmp_eq_u32 s17, 0
	s_cselect_b32 s2, s3, s4
	s_mov_b32 s3, 0
	s_wait_kmcnt 0x0
	s_cmp_ge_u32 s2, s16
	s_cbranch_scc1 .LBB46_5
; %bb.1:
	s_clause 0x2
	s_load_b32 s18, s[0:1], 0x0
	s_load_b256 s[4:11], s[0:1], 0x30
	s_load_b128 s[20:23], s[0:1], 0x20
	s_bfe_u32 s12, ttmp6, 0x4000c
	s_and_b32 s19, ttmp6, 15
	s_add_co_i32 s12, s12, 1
	v_mov_b32_e32 v1, 0
	s_mul_i32 s24, ttmp9, s12
	s_load_b128 s[12:15], s[0:1], 0x8
	s_add_co_i32 s26, s19, s24
	s_wait_kmcnt 0x0
	s_ashr_i32 s19, s18, 31
	s_lshl_b64 s[24:25], s[8:9], 3
	s_lshl_b64 s[20:21], s[20:21], 3
	s_cmp_eq_u32 s17, 0
	s_cselect_b32 s8, ttmp9, s26
	s_delay_alu instid0(SALU_CYCLE_1) | instskip(NEXT) | instid1(VALU_DEP_1)
	v_lshl_or_b32 v0, s8, 8, v0
	v_mul_u64_e32 v[2:3], s[22:23], v[0:1]
	v_mul_u64_e32 v[4:5], s[10:11], v[0:1]
	s_clause 0x1
	s_load_b64 s[10:11], s[0:1], 0x18
	s_load_b64 s[8:9], s[0:1], 0x50
	s_wait_xcnt 0x0
	s_add_nc_u64 s[0:1], s[6:7], s[24:25]
	v_cmp_gt_i64_e32 vcc_lo, s[18:19], v[0:1]
	s_wait_kmcnt 0x0
	s_add_nc_u64 s[6:7], s[10:11], s[20:21]
	s_delay_alu instid0(VALU_DEP_3) | instid1(SALU_CYCLE_1)
	v_lshl_add_u64 v[0:1], v[2:3], 3, s[6:7]
	s_delay_alu instid0(VALU_DEP_3)
	v_lshl_add_u64 v[2:3], v[4:5], 3, s[0:1]
	s_branch .LBB46_3
.LBB46_2:                               ;   in Loop: Header=BB46_3 Depth=1
	s_wait_xcnt 0x0
	s_or_b32 exec_lo, exec_lo, s6
	s_add_co_i32 s2, s2, 0x10000
	s_delay_alu instid0(SALU_CYCLE_1)
	s_cmp_lt_u32 s2, s16
	s_cbranch_scc0 .LBB46_5
.LBB46_3:                               ; =>This Inner Loop Header: Depth=1
	s_mul_u64 s[0:1], s[14:15], s[2:3]
	s_delay_alu instid0(SALU_CYCLE_1) | instskip(NEXT) | instid1(SALU_CYCLE_1)
	s_lshl_b64 s[0:1], s[0:1], 3
	s_add_nc_u64 s[6:7], s[12:13], s[0:1]
	s_load_b64 s[0:1], s[6:7], 0x0
	s_wait_kmcnt 0x0
	s_wait_xcnt 0x0
	s_or_b32 s6, s0, s1
	s_delay_alu instid0(SALU_CYCLE_1) | instskip(NEXT) | instid1(SALU_CYCLE_1)
	s_bitset0_b32 s6, 31
	s_cmp_lg_u32 s6, 0
	s_cselect_b32 s6, -1, 0
	s_delay_alu instid0(SALU_CYCLE_1) | instskip(NEXT) | instid1(SALU_CYCLE_1)
	s_and_b32 s7, vcc_lo, s6
	s_and_saveexec_b32 s6, s7
	s_cbranch_execz .LBB46_2
; %bb.4:                                ;   in Loop: Header=BB46_3 Depth=1
	s_mul_u64 s[10:11], s[4:5], s[2:3]
	s_delay_alu instid0(SALU_CYCLE_1) | instskip(SKIP_1) | instid1(SALU_CYCLE_1)
	v_lshl_add_u64 v[4:5], s[10:11], 3, v[0:1]
	s_mul_u64 s[10:11], s[8:9], s[2:3]
	v_lshl_add_u64 v[6:7], s[10:11], 3, v[2:3]
	s_mov_b32 s10, s1
	global_load_b64 v[4:5], v[4:5], off
	global_load_b64 v[8:9], v[6:7], off
	s_wait_loadcnt 0x1
	v_pk_mul_f32 v[10:11], v[4:5], s[10:11] op_sel:[1,0] op_sel_hi:[0,0]
	s_delay_alu instid0(VALU_DEP_1) | instskip(SKIP_2) | instid1(VALU_DEP_1)
	v_pk_fma_f32 v[14:15], v[4:5], s[0:1], v[10:11] op_sel_hi:[1,0,1]
	v_mov_b32_e32 v12, s0
	s_wait_xcnt 0x1
	v_pk_fma_f32 v[4:5], v[4:5], v[12:13], v[10:11] neg_lo:[0,0,1] neg_hi:[0,0,1]
	s_delay_alu instid0(VALU_DEP_3) | instskip(SKIP_1) | instid1(VALU_DEP_1)
	v_mov_b32_e32 v5, v15
	s_wait_loadcnt 0x0
	v_pk_add_f32 v[4:5], v[4:5], v[8:9]
	global_store_b64 v[6:7], v[4:5], off
	s_branch .LBB46_2
.LBB46_5:
	s_endpgm
	.section	.rodata,"a",@progbits
	.p2align	6, 0x0
	.amdhsa_kernel _ZL19rocblas_axpy_kernelIlLi256E19rocblas_complex_numIfEPKS1_S3_PS1_EviT2_lT3_lT_lT4_lS7_li
		.amdhsa_group_segment_fixed_size 0
		.amdhsa_private_segment_fixed_size 0
		.amdhsa_kernarg_size 92
		.amdhsa_user_sgpr_count 2
		.amdhsa_user_sgpr_dispatch_ptr 0
		.amdhsa_user_sgpr_queue_ptr 0
		.amdhsa_user_sgpr_kernarg_segment_ptr 1
		.amdhsa_user_sgpr_dispatch_id 0
		.amdhsa_user_sgpr_kernarg_preload_length 0
		.amdhsa_user_sgpr_kernarg_preload_offset 0
		.amdhsa_user_sgpr_private_segment_size 0
		.amdhsa_wavefront_size32 1
		.amdhsa_uses_dynamic_stack 0
		.amdhsa_enable_private_segment 0
		.amdhsa_system_sgpr_workgroup_id_x 1
		.amdhsa_system_sgpr_workgroup_id_y 0
		.amdhsa_system_sgpr_workgroup_id_z 1
		.amdhsa_system_sgpr_workgroup_info 0
		.amdhsa_system_vgpr_workitem_id 0
		.amdhsa_next_free_vgpr 16
		.amdhsa_next_free_sgpr 27
		.amdhsa_named_barrier_count 0
		.amdhsa_reserve_vcc 1
		.amdhsa_float_round_mode_32 0
		.amdhsa_float_round_mode_16_64 0
		.amdhsa_float_denorm_mode_32 3
		.amdhsa_float_denorm_mode_16_64 3
		.amdhsa_fp16_overflow 0
		.amdhsa_memory_ordered 1
		.amdhsa_forward_progress 1
		.amdhsa_inst_pref_size 4
		.amdhsa_round_robin_scheduling 0
		.amdhsa_exception_fp_ieee_invalid_op 0
		.amdhsa_exception_fp_denorm_src 0
		.amdhsa_exception_fp_ieee_div_zero 0
		.amdhsa_exception_fp_ieee_overflow 0
		.amdhsa_exception_fp_ieee_underflow 0
		.amdhsa_exception_fp_ieee_inexact 0
		.amdhsa_exception_int_div_zero 0
	.end_amdhsa_kernel
	.section	.text._ZL19rocblas_axpy_kernelIlLi256E19rocblas_complex_numIfEPKS1_S3_PS1_EviT2_lT3_lT_lT4_lS7_li,"axG",@progbits,_ZL19rocblas_axpy_kernelIlLi256E19rocblas_complex_numIfEPKS1_S3_PS1_EviT2_lT3_lT_lT4_lS7_li,comdat
.Lfunc_end46:
	.size	_ZL19rocblas_axpy_kernelIlLi256E19rocblas_complex_numIfEPKS1_S3_PS1_EviT2_lT3_lT_lT4_lS7_li, .Lfunc_end46-_ZL19rocblas_axpy_kernelIlLi256E19rocblas_complex_numIfEPKS1_S3_PS1_EviT2_lT3_lT_lT4_lS7_li
                                        ; -- End function
	.set _ZL19rocblas_axpy_kernelIlLi256E19rocblas_complex_numIfEPKS1_S3_PS1_EviT2_lT3_lT_lT4_lS7_li.num_vgpr, 16
	.set _ZL19rocblas_axpy_kernelIlLi256E19rocblas_complex_numIfEPKS1_S3_PS1_EviT2_lT3_lT_lT4_lS7_li.num_agpr, 0
	.set _ZL19rocblas_axpy_kernelIlLi256E19rocblas_complex_numIfEPKS1_S3_PS1_EviT2_lT3_lT_lT4_lS7_li.numbered_sgpr, 27
	.set _ZL19rocblas_axpy_kernelIlLi256E19rocblas_complex_numIfEPKS1_S3_PS1_EviT2_lT3_lT_lT4_lS7_li.num_named_barrier, 0
	.set _ZL19rocblas_axpy_kernelIlLi256E19rocblas_complex_numIfEPKS1_S3_PS1_EviT2_lT3_lT_lT4_lS7_li.private_seg_size, 0
	.set _ZL19rocblas_axpy_kernelIlLi256E19rocblas_complex_numIfEPKS1_S3_PS1_EviT2_lT3_lT_lT4_lS7_li.uses_vcc, 1
	.set _ZL19rocblas_axpy_kernelIlLi256E19rocblas_complex_numIfEPKS1_S3_PS1_EviT2_lT3_lT_lT4_lS7_li.uses_flat_scratch, 0
	.set _ZL19rocblas_axpy_kernelIlLi256E19rocblas_complex_numIfEPKS1_S3_PS1_EviT2_lT3_lT_lT4_lS7_li.has_dyn_sized_stack, 0
	.set _ZL19rocblas_axpy_kernelIlLi256E19rocblas_complex_numIfEPKS1_S3_PS1_EviT2_lT3_lT_lT4_lS7_li.has_recursion, 0
	.set _ZL19rocblas_axpy_kernelIlLi256E19rocblas_complex_numIfEPKS1_S3_PS1_EviT2_lT3_lT_lT4_lS7_li.has_indirect_call, 0
	.section	.AMDGPU.csdata,"",@progbits
; Kernel info:
; codeLenInByte = 476
; TotalNumSgprs: 29
; NumVgprs: 16
; ScratchSize: 0
; MemoryBound: 0
; FloatMode: 240
; IeeeMode: 1
; LDSByteSize: 0 bytes/workgroup (compile time only)
; SGPRBlocks: 0
; VGPRBlocks: 0
; NumSGPRsForWavesPerEU: 29
; NumVGPRsForWavesPerEU: 16
; NamedBarCnt: 0
; Occupancy: 16
; WaveLimiterHint : 0
; COMPUTE_PGM_RSRC2:SCRATCH_EN: 0
; COMPUTE_PGM_RSRC2:USER_SGPR: 2
; COMPUTE_PGM_RSRC2:TRAP_HANDLER: 0
; COMPUTE_PGM_RSRC2:TGID_X_EN: 1
; COMPUTE_PGM_RSRC2:TGID_Y_EN: 0
; COMPUTE_PGM_RSRC2:TGID_Z_EN: 1
; COMPUTE_PGM_RSRC2:TIDIG_COMP_CNT: 0
	.section	.text._ZL19rocblas_axpy_kernelIlLi256E19rocblas_complex_numIfES1_PKS1_PS1_EviT2_lT3_lT_lT4_lS7_li,"axG",@progbits,_ZL19rocblas_axpy_kernelIlLi256E19rocblas_complex_numIfES1_PKS1_PS1_EviT2_lT3_lT_lT4_lS7_li,comdat
	.globl	_ZL19rocblas_axpy_kernelIlLi256E19rocblas_complex_numIfES1_PKS1_PS1_EviT2_lT3_lT_lT4_lS7_li ; -- Begin function _ZL19rocblas_axpy_kernelIlLi256E19rocblas_complex_numIfES1_PKS1_PS1_EviT2_lT3_lT_lT4_lS7_li
	.p2align	8
	.type	_ZL19rocblas_axpy_kernelIlLi256E19rocblas_complex_numIfES1_PKS1_PS1_EviT2_lT3_lT_lT4_lS7_li,@function
_ZL19rocblas_axpy_kernelIlLi256E19rocblas_complex_numIfES1_PKS1_PS1_EviT2_lT3_lT_lT4_lS7_li: ; @_ZL19rocblas_axpy_kernelIlLi256E19rocblas_complex_numIfES1_PKS1_PS1_EviT2_lT3_lT_lT4_lS7_li
; %bb.0:
	s_load_b32 s14, s[0:1], 0x58
	s_bfe_u32 s2, ttmp6, 0x40014
	s_lshr_b32 s3, ttmp7, 16
	s_add_co_i32 s2, s2, 1
	s_bfe_u32 s4, ttmp6, 0x40008
	s_mul_i32 s2, s3, s2
	s_getreg_b32 s15, hwreg(HW_REG_IB_STS2, 6, 4)
	s_add_co_i32 s4, s4, s2
	s_cmp_eq_u32 s15, 0
	s_cselect_b32 s2, s3, s4
	s_mov_b32 s3, 0
	s_wait_kmcnt 0x0
	s_cmp_ge_u32 s2, s14
	s_cbranch_scc1 .LBB47_5
; %bb.1:
	s_clause 0x2
	s_load_b32 s20, s[0:1], 0x0
	s_load_b256 s[4:11], s[0:1], 0x30
	s_load_b128 s[16:19], s[0:1], 0x20
	s_bfe_u32 s12, ttmp6, 0x4000c
	s_and_b32 s21, ttmp6, 15
	s_add_co_i32 s12, s12, 1
	v_mov_b32_e32 v1, 0
	s_mul_i32 s22, ttmp9, s12
	s_load_b64 s[12:13], s[0:1], 0x4
	s_add_co_i32 s24, s21, s22
	s_wait_kmcnt 0x0
	s_ashr_i32 s21, s20, 31
	s_lshl_b64 s[22:23], s[8:9], 3
	s_lshl_b64 s[16:17], s[16:17], 3
	s_cmp_eq_u32 s15, 0
	s_cselect_b32 s8, ttmp9, s24
	s_delay_alu instid0(SALU_CYCLE_1) | instskip(NEXT) | instid1(VALU_DEP_1)
	v_lshl_or_b32 v0, s8, 8, v0
	v_mul_u64_e32 v[2:3], s[18:19], v[0:1]
	v_mul_u64_e32 v[4:5], s[10:11], v[0:1]
	s_clause 0x1
	s_load_b64 s[10:11], s[0:1], 0x18
	s_load_b64 s[8:9], s[0:1], 0x50
	s_wait_xcnt 0x0
	s_or_b32 s0, s12, s13
	v_cmp_gt_i64_e32 vcc_lo, s[20:21], v[0:1]
	s_bitset0_b32 s0, 31
	s_delay_alu instid0(SALU_CYCLE_1) | instskip(SKIP_2) | instid1(SALU_CYCLE_1)
	s_cmp_lg_u32 s0, 0
	s_add_nc_u64 s[0:1], s[6:7], s[22:23]
	s_cselect_b32 s6, -1, 0
	s_and_b32 s6, vcc_lo, s6
	s_wait_kmcnt 0x0
	s_add_nc_u64 s[10:11], s[10:11], s[16:17]
	s_delay_alu instid0(VALU_DEP_3) | instid1(SALU_CYCLE_1)
	v_lshl_add_u64 v[0:1], v[2:3], 3, s[10:11]
	s_delay_alu instid0(VALU_DEP_3)
	v_lshl_add_u64 v[2:3], v[4:5], 3, s[0:1]
	s_mov_b32 s0, s12
	s_mov_b32 s1, s12
	;; [unrolled: 1-line block ×3, first 2 shown]
	s_branch .LBB47_3
.LBB47_2:                               ;   in Loop: Header=BB47_3 Depth=1
	s_wait_xcnt 0x0
	s_or_b32 exec_lo, exec_lo, s7
	s_add_co_i32 s2, s2, 0x10000
	s_delay_alu instid0(SALU_CYCLE_1)
	s_cmp_lt_u32 s2, s14
	s_cbranch_scc0 .LBB47_5
.LBB47_3:                               ; =>This Inner Loop Header: Depth=1
	s_and_saveexec_b32 s7, s6
	s_cbranch_execz .LBB47_2
; %bb.4:                                ;   in Loop: Header=BB47_3 Depth=1
	s_mul_u64 s[10:11], s[4:5], s[2:3]
	v_mov_b64_e32 v[10:11], s[12:13]
	v_lshl_add_u64 v[4:5], s[10:11], 3, v[0:1]
	s_mul_u64 s[10:11], s[8:9], s[2:3]
	v_mov_b64_e32 v[12:13], s[0:1]
	v_lshl_add_u64 v[6:7], s[10:11], 3, v[2:3]
	global_load_b64 v[4:5], v[4:5], off
	global_load_b64 v[8:9], v[6:7], off
	s_wait_loadcnt 0x1
	v_pk_mul_f32 v[10:11], v[4:5], v[10:11] op_sel:[1,0] op_sel_hi:[0,1]
	s_delay_alu instid0(VALU_DEP_1) | instskip(SKIP_2) | instid1(VALU_DEP_2)
	v_pk_fma_f32 v[14:15], v[4:5], v[12:13], v[10:11]
	s_wait_xcnt 0x1
	v_pk_fma_f32 v[4:5], v[4:5], v[12:13], v[10:11] neg_lo:[0,0,1] neg_hi:[0,0,1]
	v_mov_b32_e32 v5, v15
	s_wait_loadcnt 0x0
	s_delay_alu instid0(VALU_DEP_1)
	v_pk_add_f32 v[4:5], v[4:5], v[8:9]
	global_store_b64 v[6:7], v[4:5], off
	s_branch .LBB47_2
.LBB47_5:
	s_endpgm
	.section	.rodata,"a",@progbits
	.p2align	6, 0x0
	.amdhsa_kernel _ZL19rocblas_axpy_kernelIlLi256E19rocblas_complex_numIfES1_PKS1_PS1_EviT2_lT3_lT_lT4_lS7_li
		.amdhsa_group_segment_fixed_size 0
		.amdhsa_private_segment_fixed_size 0
		.amdhsa_kernarg_size 92
		.amdhsa_user_sgpr_count 2
		.amdhsa_user_sgpr_dispatch_ptr 0
		.amdhsa_user_sgpr_queue_ptr 0
		.amdhsa_user_sgpr_kernarg_segment_ptr 1
		.amdhsa_user_sgpr_dispatch_id 0
		.amdhsa_user_sgpr_kernarg_preload_length 0
		.amdhsa_user_sgpr_kernarg_preload_offset 0
		.amdhsa_user_sgpr_private_segment_size 0
		.amdhsa_wavefront_size32 1
		.amdhsa_uses_dynamic_stack 0
		.amdhsa_enable_private_segment 0
		.amdhsa_system_sgpr_workgroup_id_x 1
		.amdhsa_system_sgpr_workgroup_id_y 0
		.amdhsa_system_sgpr_workgroup_id_z 1
		.amdhsa_system_sgpr_workgroup_info 0
		.amdhsa_system_vgpr_workitem_id 0
		.amdhsa_next_free_vgpr 16
		.amdhsa_next_free_sgpr 25
		.amdhsa_named_barrier_count 0
		.amdhsa_reserve_vcc 1
		.amdhsa_float_round_mode_32 0
		.amdhsa_float_round_mode_16_64 0
		.amdhsa_float_denorm_mode_32 3
		.amdhsa_float_denorm_mode_16_64 3
		.amdhsa_fp16_overflow 0
		.amdhsa_memory_ordered 1
		.amdhsa_forward_progress 1
		.amdhsa_inst_pref_size 4
		.amdhsa_round_robin_scheduling 0
		.amdhsa_exception_fp_ieee_invalid_op 0
		.amdhsa_exception_fp_denorm_src 0
		.amdhsa_exception_fp_ieee_div_zero 0
		.amdhsa_exception_fp_ieee_overflow 0
		.amdhsa_exception_fp_ieee_underflow 0
		.amdhsa_exception_fp_ieee_inexact 0
		.amdhsa_exception_int_div_zero 0
	.end_amdhsa_kernel
	.section	.text._ZL19rocblas_axpy_kernelIlLi256E19rocblas_complex_numIfES1_PKS1_PS1_EviT2_lT3_lT_lT4_lS7_li,"axG",@progbits,_ZL19rocblas_axpy_kernelIlLi256E19rocblas_complex_numIfES1_PKS1_PS1_EviT2_lT3_lT_lT4_lS7_li,comdat
.Lfunc_end47:
	.size	_ZL19rocblas_axpy_kernelIlLi256E19rocblas_complex_numIfES1_PKS1_PS1_EviT2_lT3_lT_lT4_lS7_li, .Lfunc_end47-_ZL19rocblas_axpy_kernelIlLi256E19rocblas_complex_numIfES1_PKS1_PS1_EviT2_lT3_lT_lT4_lS7_li
                                        ; -- End function
	.set _ZL19rocblas_axpy_kernelIlLi256E19rocblas_complex_numIfES1_PKS1_PS1_EviT2_lT3_lT_lT4_lS7_li.num_vgpr, 16
	.set _ZL19rocblas_axpy_kernelIlLi256E19rocblas_complex_numIfES1_PKS1_PS1_EviT2_lT3_lT_lT4_lS7_li.num_agpr, 0
	.set _ZL19rocblas_axpy_kernelIlLi256E19rocblas_complex_numIfES1_PKS1_PS1_EviT2_lT3_lT_lT4_lS7_li.numbered_sgpr, 25
	.set _ZL19rocblas_axpy_kernelIlLi256E19rocblas_complex_numIfES1_PKS1_PS1_EviT2_lT3_lT_lT4_lS7_li.num_named_barrier, 0
	.set _ZL19rocblas_axpy_kernelIlLi256E19rocblas_complex_numIfES1_PKS1_PS1_EviT2_lT3_lT_lT4_lS7_li.private_seg_size, 0
	.set _ZL19rocblas_axpy_kernelIlLi256E19rocblas_complex_numIfES1_PKS1_PS1_EviT2_lT3_lT_lT4_lS7_li.uses_vcc, 1
	.set _ZL19rocblas_axpy_kernelIlLi256E19rocblas_complex_numIfES1_PKS1_PS1_EviT2_lT3_lT_lT4_lS7_li.uses_flat_scratch, 0
	.set _ZL19rocblas_axpy_kernelIlLi256E19rocblas_complex_numIfES1_PKS1_PS1_EviT2_lT3_lT_lT4_lS7_li.has_dyn_sized_stack, 0
	.set _ZL19rocblas_axpy_kernelIlLi256E19rocblas_complex_numIfES1_PKS1_PS1_EviT2_lT3_lT_lT4_lS7_li.has_recursion, 0
	.set _ZL19rocblas_axpy_kernelIlLi256E19rocblas_complex_numIfES1_PKS1_PS1_EviT2_lT3_lT_lT4_lS7_li.has_indirect_call, 0
	.section	.AMDGPU.csdata,"",@progbits
; Kernel info:
; codeLenInByte = 448
; TotalNumSgprs: 27
; NumVgprs: 16
; ScratchSize: 0
; MemoryBound: 0
; FloatMode: 240
; IeeeMode: 1
; LDSByteSize: 0 bytes/workgroup (compile time only)
; SGPRBlocks: 0
; VGPRBlocks: 0
; NumSGPRsForWavesPerEU: 27
; NumVGPRsForWavesPerEU: 16
; NamedBarCnt: 0
; Occupancy: 16
; WaveLimiterHint : 0
; COMPUTE_PGM_RSRC2:SCRATCH_EN: 0
; COMPUTE_PGM_RSRC2:USER_SGPR: 2
; COMPUTE_PGM_RSRC2:TRAP_HANDLER: 0
; COMPUTE_PGM_RSRC2:TGID_X_EN: 1
; COMPUTE_PGM_RSRC2:TGID_Y_EN: 0
; COMPUTE_PGM_RSRC2:TGID_Z_EN: 1
; COMPUTE_PGM_RSRC2:TIDIG_COMP_CNT: 0
	.section	.text._ZL26rocblas_haxpy_mlt_8_kernelILi256EPKDF16_PK19rocblas_complex_numIdEPS3_EviT0_lT1_llT2_lli,"axG",@progbits,_ZL26rocblas_haxpy_mlt_8_kernelILi256EPKDF16_PK19rocblas_complex_numIdEPS3_EviT0_lT1_llT2_lli,comdat
	.globl	_ZL26rocblas_haxpy_mlt_8_kernelILi256EPKDF16_PK19rocblas_complex_numIdEPS3_EviT0_lT1_llT2_lli ; -- Begin function _ZL26rocblas_haxpy_mlt_8_kernelILi256EPKDF16_PK19rocblas_complex_numIdEPS3_EviT0_lT1_llT2_lli
	.p2align	8
	.type	_ZL26rocblas_haxpy_mlt_8_kernelILi256EPKDF16_PK19rocblas_complex_numIdEPS3_EviT0_lT1_llT2_lli,@function
_ZL26rocblas_haxpy_mlt_8_kernelILi256EPKDF16_PK19rocblas_complex_numIdEPS3_EviT0_lT1_llT2_lli: ; @_ZL26rocblas_haxpy_mlt_8_kernelILi256EPKDF16_PK19rocblas_complex_numIdEPS3_EviT0_lT1_llT2_lli
; %bb.0:
	s_load_b32 s20, s[0:1], 0x48
	s_bfe_u32 s2, ttmp6, 0x40014
	s_lshr_b32 s3, ttmp7, 16
	s_add_co_i32 s2, s2, 1
	s_bfe_u32 s4, ttmp6, 0x40008
	s_mul_i32 s2, s3, s2
	s_getreg_b32 s21, hwreg(HW_REG_IB_STS2, 6, 4)
	s_add_co_i32 s4, s4, s2
	s_cmp_eq_u32 s21, 0
	s_cselect_b32 s2, s3, s4
	s_mov_b32 s3, 0
	s_wait_kmcnt 0x0
	s_cmp_ge_u32 s2, s20
	s_cbranch_scc1 .LBB48_5
; %bb.1:
	s_clause 0x1
	s_load_b32 s22, s[0:1], 0x0
	s_load_b512 s[4:19], s[0:1], 0x8
	s_wait_xcnt 0x0
	s_bfe_u32 s0, ttmp6, 0x4000c
	s_and_b32 s1, ttmp6, 15
	s_add_co_i32 s0, s0, 1
	v_mov_b32_e32 v1, 0
	s_mul_i32 s0, ttmp9, s0
	s_delay_alu instid0(SALU_CYCLE_1)
	s_add_co_i32 s24, s1, s0
	s_wait_kmcnt 0x0
	s_ashr_i32 s23, s22, 31
	s_lshl_b64 s[0:1], s[16:17], 4
	s_lshl_b64 s[10:11], s[10:11], 4
	s_cmp_eq_u32 s21, 0
	s_add_nc_u64 s[0:1], s[14:15], s[0:1]
	s_cselect_b32 s16, ttmp9, s24
	s_add_nc_u64 s[8:9], s[8:9], s[10:11]
	v_lshl_or_b32 v0, s16, 8, v0
	s_delay_alu instid0(VALU_DEP_1) | instskip(SKIP_1) | instid1(VALU_DEP_2)
	v_lshlrev_b64_e32 v[2:3], 3, v[0:1]
	v_lshlrev_b64_e32 v[4:5], 7, v[0:1]
	v_cmp_le_i64_e32 vcc_lo, s[22:23], v[2:3]
	s_delay_alu instid0(VALU_DEP_2)
	v_add_nc_u64_e32 v[2:3], s[8:9], v[4:5]
	v_add_nc_u64_e32 v[4:5], s[0:1], v[4:5]
	s_xor_b32 s0, vcc_lo, -1
	s_branch .LBB48_3
.LBB48_2:                               ;   in Loop: Header=BB48_3 Depth=1
	s_wait_xcnt 0x0
	s_or_b32 exec_lo, exec_lo, s1
	s_add_co_i32 s2, s2, 0x10000
	s_delay_alu instid0(SALU_CYCLE_1)
	s_cmp_lt_u32 s2, s20
	s_cbranch_scc0 .LBB48_5
.LBB48_3:                               ; =>This Inner Loop Header: Depth=1
	s_mul_u64 s[8:9], s[6:7], s[2:3]
	s_delay_alu instid0(SALU_CYCLE_1) | instskip(NEXT) | instid1(SALU_CYCLE_1)
	s_lshl_b64 s[8:9], s[8:9], 1
	s_add_nc_u64 s[8:9], s[4:5], s[8:9]
	global_load_u16 v0, v1, s[8:9]
	s_wait_loadcnt 0x0
	v_readfirstlane_b32 s1, v0
	s_pack_ll_b32_b16 s1, s1, s1
	s_delay_alu instid0(SALU_CYCLE_1) | instskip(NEXT) | instid1(SALU_CYCLE_1)
	s_and_b32 s1, s1, 0x7fff
	s_cmp_lg_u32 s1, 0
	s_cselect_b32 s1, -1, 0
	s_wait_xcnt 0x0
	s_and_b32 s8, s1, s0
	s_delay_alu instid0(SALU_CYCLE_1)
	s_and_saveexec_b32 s1, s8
	s_cbranch_execz .LBB48_2
; %bb.4:                                ;   in Loop: Header=BB48_3 Depth=1
	s_mul_u64 s[8:9], s[18:19], s[2:3]
	s_mul_u64 s[10:11], s[12:13], s[2:3]
	v_lshl_add_u64 v[14:15], s[8:9], 4, v[4:5]
	v_lshl_add_u64 v[16:17], s[10:11], 4, v[2:3]
	global_load_b128 v[6:9], v[14:15], off
	global_load_b128 v[10:13], v[16:17], off
	s_wait_loadcnt 0x0
	v_pk_fma_f16 v9, v0, v13, v9 op_sel_hi:[0,1,1]
	v_pk_fma_f16 v8, v0, v12, v8 op_sel_hi:[0,1,1]
	v_pk_fma_f16 v7, v0, v11, v7 op_sel_hi:[0,1,1]
	v_pk_fma_f16 v6, v0, v10, v6 op_sel_hi:[0,1,1]
	global_store_b128 v[14:15], v[6:9], off
	s_branch .LBB48_2
.LBB48_5:
	s_endpgm
	.section	.rodata,"a",@progbits
	.p2align	6, 0x0
	.amdhsa_kernel _ZL26rocblas_haxpy_mlt_8_kernelILi256EPKDF16_PK19rocblas_complex_numIdEPS3_EviT0_lT1_llT2_lli
		.amdhsa_group_segment_fixed_size 0
		.amdhsa_private_segment_fixed_size 0
		.amdhsa_kernarg_size 76
		.amdhsa_user_sgpr_count 2
		.amdhsa_user_sgpr_dispatch_ptr 0
		.amdhsa_user_sgpr_queue_ptr 0
		.amdhsa_user_sgpr_kernarg_segment_ptr 1
		.amdhsa_user_sgpr_dispatch_id 0
		.amdhsa_user_sgpr_kernarg_preload_length 0
		.amdhsa_user_sgpr_kernarg_preload_offset 0
		.amdhsa_user_sgpr_private_segment_size 0
		.amdhsa_wavefront_size32 1
		.amdhsa_uses_dynamic_stack 0
		.amdhsa_enable_private_segment 0
		.amdhsa_system_sgpr_workgroup_id_x 1
		.amdhsa_system_sgpr_workgroup_id_y 0
		.amdhsa_system_sgpr_workgroup_id_z 1
		.amdhsa_system_sgpr_workgroup_info 0
		.amdhsa_system_vgpr_workitem_id 0
		.amdhsa_next_free_vgpr 18
		.amdhsa_next_free_sgpr 25
		.amdhsa_named_barrier_count 0
		.amdhsa_reserve_vcc 1
		.amdhsa_float_round_mode_32 0
		.amdhsa_float_round_mode_16_64 0
		.amdhsa_float_denorm_mode_32 3
		.amdhsa_float_denorm_mode_16_64 3
		.amdhsa_fp16_overflow 0
		.amdhsa_memory_ordered 1
		.amdhsa_forward_progress 1
		.amdhsa_inst_pref_size 4
		.amdhsa_round_robin_scheduling 0
		.amdhsa_exception_fp_ieee_invalid_op 0
		.amdhsa_exception_fp_denorm_src 0
		.amdhsa_exception_fp_ieee_div_zero 0
		.amdhsa_exception_fp_ieee_overflow 0
		.amdhsa_exception_fp_ieee_underflow 0
		.amdhsa_exception_fp_ieee_inexact 0
		.amdhsa_exception_int_div_zero 0
	.end_amdhsa_kernel
	.section	.text._ZL26rocblas_haxpy_mlt_8_kernelILi256EPKDF16_PK19rocblas_complex_numIdEPS3_EviT0_lT1_llT2_lli,"axG",@progbits,_ZL26rocblas_haxpy_mlt_8_kernelILi256EPKDF16_PK19rocblas_complex_numIdEPS3_EviT0_lT1_llT2_lli,comdat
.Lfunc_end48:
	.size	_ZL26rocblas_haxpy_mlt_8_kernelILi256EPKDF16_PK19rocblas_complex_numIdEPS3_EviT0_lT1_llT2_lli, .Lfunc_end48-_ZL26rocblas_haxpy_mlt_8_kernelILi256EPKDF16_PK19rocblas_complex_numIdEPS3_EviT0_lT1_llT2_lli
                                        ; -- End function
	.set _ZL26rocblas_haxpy_mlt_8_kernelILi256EPKDF16_PK19rocblas_complex_numIdEPS3_EviT0_lT1_llT2_lli.num_vgpr, 18
	.set _ZL26rocblas_haxpy_mlt_8_kernelILi256EPKDF16_PK19rocblas_complex_numIdEPS3_EviT0_lT1_llT2_lli.num_agpr, 0
	.set _ZL26rocblas_haxpy_mlt_8_kernelILi256EPKDF16_PK19rocblas_complex_numIdEPS3_EviT0_lT1_llT2_lli.numbered_sgpr, 25
	.set _ZL26rocblas_haxpy_mlt_8_kernelILi256EPKDF16_PK19rocblas_complex_numIdEPS3_EviT0_lT1_llT2_lli.num_named_barrier, 0
	.set _ZL26rocblas_haxpy_mlt_8_kernelILi256EPKDF16_PK19rocblas_complex_numIdEPS3_EviT0_lT1_llT2_lli.private_seg_size, 0
	.set _ZL26rocblas_haxpy_mlt_8_kernelILi256EPKDF16_PK19rocblas_complex_numIdEPS3_EviT0_lT1_llT2_lli.uses_vcc, 1
	.set _ZL26rocblas_haxpy_mlt_8_kernelILi256EPKDF16_PK19rocblas_complex_numIdEPS3_EviT0_lT1_llT2_lli.uses_flat_scratch, 0
	.set _ZL26rocblas_haxpy_mlt_8_kernelILi256EPKDF16_PK19rocblas_complex_numIdEPS3_EviT0_lT1_llT2_lli.has_dyn_sized_stack, 0
	.set _ZL26rocblas_haxpy_mlt_8_kernelILi256EPKDF16_PK19rocblas_complex_numIdEPS3_EviT0_lT1_llT2_lli.has_recursion, 0
	.set _ZL26rocblas_haxpy_mlt_8_kernelILi256EPKDF16_PK19rocblas_complex_numIdEPS3_EviT0_lT1_llT2_lli.has_indirect_call, 0
	.section	.AMDGPU.csdata,"",@progbits
; Kernel info:
; codeLenInByte = 412
; TotalNumSgprs: 27
; NumVgprs: 18
; ScratchSize: 0
; MemoryBound: 1
; FloatMode: 240
; IeeeMode: 1
; LDSByteSize: 0 bytes/workgroup (compile time only)
; SGPRBlocks: 0
; VGPRBlocks: 1
; NumSGPRsForWavesPerEU: 27
; NumVGPRsForWavesPerEU: 18
; NamedBarCnt: 0
; Occupancy: 16
; WaveLimiterHint : 0
; COMPUTE_PGM_RSRC2:SCRATCH_EN: 0
; COMPUTE_PGM_RSRC2:USER_SGPR: 2
; COMPUTE_PGM_RSRC2:TRAP_HANDLER: 0
; COMPUTE_PGM_RSRC2:TGID_X_EN: 1
; COMPUTE_PGM_RSRC2:TGID_Y_EN: 0
; COMPUTE_PGM_RSRC2:TGID_Z_EN: 1
; COMPUTE_PGM_RSRC2:TIDIG_COMP_CNT: 0
	.section	.text._ZL26rocblas_haxpy_mod_8_kernelILi256EPK19rocblas_complex_numIdES3_PS1_EviT0_lT1_llT2_lli,"axG",@progbits,_ZL26rocblas_haxpy_mod_8_kernelILi256EPK19rocblas_complex_numIdES3_PS1_EviT0_lT1_llT2_lli,comdat
	.globl	_ZL26rocblas_haxpy_mod_8_kernelILi256EPK19rocblas_complex_numIdES3_PS1_EviT0_lT1_llT2_lli ; -- Begin function _ZL26rocblas_haxpy_mod_8_kernelILi256EPK19rocblas_complex_numIdES3_PS1_EviT0_lT1_llT2_lli
	.p2align	8
	.type	_ZL26rocblas_haxpy_mod_8_kernelILi256EPK19rocblas_complex_numIdES3_PS1_EviT0_lT1_llT2_lli,@function
_ZL26rocblas_haxpy_mod_8_kernelILi256EPK19rocblas_complex_numIdES3_PS1_EviT0_lT1_llT2_lli: ; @_ZL26rocblas_haxpy_mod_8_kernelILi256EPK19rocblas_complex_numIdES3_PS1_EviT0_lT1_llT2_lli
; %bb.0:
	s_load_b32 s20, s[0:1], 0x48
	s_bfe_u32 s2, ttmp6, 0x40014
	s_lshr_b32 s3, ttmp7, 16
	s_add_co_i32 s2, s2, 1
	s_bfe_u32 s4, ttmp6, 0x40008
	s_mul_i32 s2, s3, s2
	s_getreg_b32 s21, hwreg(HW_REG_IB_STS2, 6, 4)
	s_add_co_i32 s4, s4, s2
	s_cmp_eq_u32 s21, 0
	s_cselect_b32 s2, s3, s4
	s_mov_b32 s3, 0
	s_wait_kmcnt 0x0
	s_cmp_ge_u32 s2, s20
	s_cbranch_scc1 .LBB49_5
; %bb.1:
	s_clause 0x1
	s_load_b32 s22, s[0:1], 0x0
	s_load_b512 s[4:19], s[0:1], 0x8
	s_wait_xcnt 0x0
	s_bfe_u32 s0, ttmp6, 0x4000c
	s_and_b32 s1, ttmp6, 15
	s_add_co_i32 s0, s0, 1
	v_mov_b32_e32 v5, 0
	s_mul_i32 s0, ttmp9, s0
	s_delay_alu instid0(SALU_CYCLE_1) | instskip(SKIP_4) | instid1(SALU_CYCLE_1)
	s_add_co_i32 s1, s1, s0
	s_wait_kmcnt 0x0
	s_ashr_i32 s23, s22, 31
	s_cmp_eq_u32 s21, 0
	s_cselect_b32 s0, ttmp9, s1
	v_lshl_or_b32 v4, s0, 8, v0
	s_lshl_b64 s[0:1], s[10:11], 4
	s_lshl_b64 s[10:11], s[16:17], 4
	s_add_nc_u64 s[0:1], s[8:9], s[0:1]
	s_add_nc_u64 s[8:9], s[14:15], s[10:11]
	v_lshlrev_b64_e32 v[0:1], 4, v[4:5]
	v_cmp_gt_i64_e32 vcc_lo, s[22:23], v[4:5]
	s_delay_alu instid0(VALU_DEP_2)
	v_add_nc_u64_e32 v[6:7], s[0:1], v[0:1]
	v_add_nc_u64_e32 v[8:9], s[8:9], v[0:1]
	s_branch .LBB49_3
.LBB49_2:                               ;   in Loop: Header=BB49_3 Depth=1
	s_wait_xcnt 0x0
	s_or_b32 exec_lo, exec_lo, s0
	s_add_co_i32 s2, s2, 0x10000
	s_delay_alu instid0(SALU_CYCLE_1)
	s_cmp_lt_u32 s2, s20
	s_cbranch_scc0 .LBB49_5
.LBB49_3:                               ; =>This Inner Loop Header: Depth=1
	s_mul_u64 s[0:1], s[6:7], s[2:3]
	s_delay_alu instid0(SALU_CYCLE_1) | instskip(NEXT) | instid1(SALU_CYCLE_1)
	s_lshl_b64 s[0:1], s[0:1], 4
	s_add_nc_u64 s[0:1], s[4:5], s[0:1]
	global_load_b128 v[0:3], v5, s[0:1]
	s_wait_loadcnt 0x0
	s_wait_xcnt 0x0
	v_cmp_neq_f64_e64 s0, 0, v[0:1]
	v_cmp_neq_f64_e64 s1, 0, v[2:3]
	s_or_b32 s0, s0, s1
	s_delay_alu instid0(SALU_CYCLE_1) | instskip(NEXT) | instid1(SALU_CYCLE_1)
	s_and_b32 s1, vcc_lo, s0
	s_and_saveexec_b32 s0, s1
	s_cbranch_execz .LBB49_2
; %bb.4:                                ;   in Loop: Header=BB49_3 Depth=1
	s_mul_u64 s[8:9], s[12:13], s[2:3]
	s_delay_alu instid0(SALU_CYCLE_1) | instskip(SKIP_1) | instid1(SALU_CYCLE_1)
	v_lshl_add_u64 v[10:11], s[8:9], 4, v[6:7]
	s_mul_u64 s[8:9], s[18:19], s[2:3]
	v_lshl_add_u64 v[18:19], s[8:9], 4, v[8:9]
	global_load_b128 v[10:13], v[10:11], off
	global_load_b128 v[14:17], v[18:19], off
	s_wait_loadcnt 0x1
	v_mul_f64_e32 v[20:21], v[2:3], v[12:13]
	v_mul_f64_e32 v[12:13], v[0:1], v[12:13]
	s_delay_alu instid0(VALU_DEP_2) | instskip(NEXT) | instid1(VALU_DEP_2)
	v_fma_f64 v[0:1], v[0:1], v[10:11], -v[20:21]
	v_fmac_f64_e32 v[12:13], v[2:3], v[10:11]
	s_wait_loadcnt 0x0
	s_delay_alu instid0(VALU_DEP_2) | instskip(NEXT) | instid1(VALU_DEP_2)
	v_add_f64_e32 v[0:1], v[14:15], v[0:1]
	v_add_f64_e32 v[2:3], v[12:13], v[16:17]
	global_store_b128 v[18:19], v[0:3], off
	s_branch .LBB49_2
.LBB49_5:
	s_endpgm
	.section	.rodata,"a",@progbits
	.p2align	6, 0x0
	.amdhsa_kernel _ZL26rocblas_haxpy_mod_8_kernelILi256EPK19rocblas_complex_numIdES3_PS1_EviT0_lT1_llT2_lli
		.amdhsa_group_segment_fixed_size 0
		.amdhsa_private_segment_fixed_size 0
		.amdhsa_kernarg_size 76
		.amdhsa_user_sgpr_count 2
		.amdhsa_user_sgpr_dispatch_ptr 0
		.amdhsa_user_sgpr_queue_ptr 0
		.amdhsa_user_sgpr_kernarg_segment_ptr 1
		.amdhsa_user_sgpr_dispatch_id 0
		.amdhsa_user_sgpr_kernarg_preload_length 0
		.amdhsa_user_sgpr_kernarg_preload_offset 0
		.amdhsa_user_sgpr_private_segment_size 0
		.amdhsa_wavefront_size32 1
		.amdhsa_uses_dynamic_stack 0
		.amdhsa_enable_private_segment 0
		.amdhsa_system_sgpr_workgroup_id_x 1
		.amdhsa_system_sgpr_workgroup_id_y 0
		.amdhsa_system_sgpr_workgroup_id_z 1
		.amdhsa_system_sgpr_workgroup_info 0
		.amdhsa_system_vgpr_workitem_id 0
		.amdhsa_next_free_vgpr 22
		.amdhsa_next_free_sgpr 24
		.amdhsa_named_barrier_count 0
		.amdhsa_reserve_vcc 1
		.amdhsa_float_round_mode_32 0
		.amdhsa_float_round_mode_16_64 0
		.amdhsa_float_denorm_mode_32 3
		.amdhsa_float_denorm_mode_16_64 3
		.amdhsa_fp16_overflow 0
		.amdhsa_memory_ordered 1
		.amdhsa_forward_progress 1
		.amdhsa_inst_pref_size 4
		.amdhsa_round_robin_scheduling 0
		.amdhsa_exception_fp_ieee_invalid_op 0
		.amdhsa_exception_fp_denorm_src 0
		.amdhsa_exception_fp_ieee_div_zero 0
		.amdhsa_exception_fp_ieee_overflow 0
		.amdhsa_exception_fp_ieee_underflow 0
		.amdhsa_exception_fp_ieee_inexact 0
		.amdhsa_exception_int_div_zero 0
	.end_amdhsa_kernel
	.section	.text._ZL26rocblas_haxpy_mod_8_kernelILi256EPK19rocblas_complex_numIdES3_PS1_EviT0_lT1_llT2_lli,"axG",@progbits,_ZL26rocblas_haxpy_mod_8_kernelILi256EPK19rocblas_complex_numIdES3_PS1_EviT0_lT1_llT2_lli,comdat
.Lfunc_end49:
	.size	_ZL26rocblas_haxpy_mod_8_kernelILi256EPK19rocblas_complex_numIdES3_PS1_EviT0_lT1_llT2_lli, .Lfunc_end49-_ZL26rocblas_haxpy_mod_8_kernelILi256EPK19rocblas_complex_numIdES3_PS1_EviT0_lT1_llT2_lli
                                        ; -- End function
	.set _ZL26rocblas_haxpy_mod_8_kernelILi256EPK19rocblas_complex_numIdES3_PS1_EviT0_lT1_llT2_lli.num_vgpr, 22
	.set _ZL26rocblas_haxpy_mod_8_kernelILi256EPK19rocblas_complex_numIdES3_PS1_EviT0_lT1_llT2_lli.num_agpr, 0
	.set _ZL26rocblas_haxpy_mod_8_kernelILi256EPK19rocblas_complex_numIdES3_PS1_EviT0_lT1_llT2_lli.numbered_sgpr, 24
	.set _ZL26rocblas_haxpy_mod_8_kernelILi256EPK19rocblas_complex_numIdES3_PS1_EviT0_lT1_llT2_lli.num_named_barrier, 0
	.set _ZL26rocblas_haxpy_mod_8_kernelILi256EPK19rocblas_complex_numIdES3_PS1_EviT0_lT1_llT2_lli.private_seg_size, 0
	.set _ZL26rocblas_haxpy_mod_8_kernelILi256EPK19rocblas_complex_numIdES3_PS1_EviT0_lT1_llT2_lli.uses_vcc, 1
	.set _ZL26rocblas_haxpy_mod_8_kernelILi256EPK19rocblas_complex_numIdES3_PS1_EviT0_lT1_llT2_lli.uses_flat_scratch, 0
	.set _ZL26rocblas_haxpy_mod_8_kernelILi256EPK19rocblas_complex_numIdES3_PS1_EviT0_lT1_llT2_lli.has_dyn_sized_stack, 0
	.set _ZL26rocblas_haxpy_mod_8_kernelILi256EPK19rocblas_complex_numIdES3_PS1_EviT0_lT1_llT2_lli.has_recursion, 0
	.set _ZL26rocblas_haxpy_mod_8_kernelILi256EPK19rocblas_complex_numIdES3_PS1_EviT0_lT1_llT2_lli.has_indirect_call, 0
	.section	.AMDGPU.csdata,"",@progbits
; Kernel info:
; codeLenInByte = 404
; TotalNumSgprs: 26
; NumVgprs: 22
; ScratchSize: 0
; MemoryBound: 0
; FloatMode: 240
; IeeeMode: 1
; LDSByteSize: 0 bytes/workgroup (compile time only)
; SGPRBlocks: 0
; VGPRBlocks: 1
; NumSGPRsForWavesPerEU: 26
; NumVGPRsForWavesPerEU: 22
; NamedBarCnt: 0
; Occupancy: 16
; WaveLimiterHint : 0
; COMPUTE_PGM_RSRC2:SCRATCH_EN: 0
; COMPUTE_PGM_RSRC2:USER_SGPR: 2
; COMPUTE_PGM_RSRC2:TRAP_HANDLER: 0
; COMPUTE_PGM_RSRC2:TGID_X_EN: 1
; COMPUTE_PGM_RSRC2:TGID_Y_EN: 0
; COMPUTE_PGM_RSRC2:TGID_Z_EN: 1
; COMPUTE_PGM_RSRC2:TIDIG_COMP_CNT: 0
	.section	.text._ZL26rocblas_haxpy_mlt_8_kernelILi256EDF16_PK19rocblas_complex_numIdEPS1_EviT0_lT1_llT2_lli,"axG",@progbits,_ZL26rocblas_haxpy_mlt_8_kernelILi256EDF16_PK19rocblas_complex_numIdEPS1_EviT0_lT1_llT2_lli,comdat
	.globl	_ZL26rocblas_haxpy_mlt_8_kernelILi256EDF16_PK19rocblas_complex_numIdEPS1_EviT0_lT1_llT2_lli ; -- Begin function _ZL26rocblas_haxpy_mlt_8_kernelILi256EDF16_PK19rocblas_complex_numIdEPS1_EviT0_lT1_llT2_lli
	.p2align	8
	.type	_ZL26rocblas_haxpy_mlt_8_kernelILi256EDF16_PK19rocblas_complex_numIdEPS1_EviT0_lT1_llT2_lli,@function
_ZL26rocblas_haxpy_mlt_8_kernelILi256EDF16_PK19rocblas_complex_numIdEPS1_EviT0_lT1_llT2_lli: ; @_ZL26rocblas_haxpy_mlt_8_kernelILi256EDF16_PK19rocblas_complex_numIdEPS1_EviT0_lT1_llT2_lli
; %bb.0:
	s_load_b32 s16, s[0:1], 0x40
	s_bfe_u32 s2, ttmp6, 0x40014
	s_lshr_b32 s3, ttmp7, 16
	s_add_co_i32 s2, s2, 1
	s_bfe_u32 s4, ttmp6, 0x40008
	s_mul_i32 s2, s3, s2
	s_getreg_b32 s17, hwreg(HW_REG_IB_STS2, 6, 4)
	s_add_co_i32 s4, s4, s2
	s_cmp_eq_u32 s17, 0
	s_cselect_b32 s2, s3, s4
	s_mov_b32 s3, 0
	s_wait_kmcnt 0x0
	s_cmp_ge_u32 s2, s16
	s_cbranch_scc1 .LBB50_5
; %bb.1:
	s_clause 0x2
	s_load_b128 s[12:15], s[0:1], 0x30
	s_load_b256 s[4:11], s[0:1], 0x10
	s_load_b64 s[18:19], s[0:1], 0x0
	s_wait_xcnt 0x0
	s_bfe_u32 s0, ttmp6, 0x4000c
	s_and_b32 s1, ttmp6, 15
	s_add_co_i32 s0, s0, 1
	v_mov_b32_e32 v1, 0
	s_mul_i32 s0, ttmp9, s0
	s_delay_alu instid0(SALU_CYCLE_1)
	s_add_co_i32 s1, s1, s0
	s_wait_kmcnt 0x0
	s_lshl_b64 s[12:13], s[12:13], 4
	s_lshl_b64 s[6:7], s[6:7], 4
	s_cmp_eq_u32 s17, 0
	s_add_nc_u64 s[4:5], s[4:5], s[6:7]
	s_cselect_b32 s0, ttmp9, s1
	s_add_nc_u64 s[6:7], s[10:11], s[12:13]
	v_lshl_or_b32 v0, s0, 8, v0
	s_pack_ll_b32_b16 s0, s19, s19
	s_delay_alu instid0(SALU_CYCLE_1) | instskip(NEXT) | instid1(SALU_CYCLE_1)
	s_and_b32 s1, s0, 0x7fff
	s_cmp_lg_u32 s1, 0
	s_delay_alu instid0(VALU_DEP_1) | instskip(SKIP_4) | instid1(VALU_DEP_2)
	v_lshlrev_b64_e32 v[2:3], 3, v[0:1]
	v_lshlrev_b64_e32 v[4:5], 7, v[0:1]
	s_cselect_b32 s17, -1, 0
	s_ashr_i32 s19, s18, 31
	s_mov_b32 s1, s0
	v_cmp_gt_i64_e32 vcc_lo, s[18:19], v[2:3]
	s_delay_alu instid0(VALU_DEP_2)
	v_add_nc_u64_e32 v[0:1], s[4:5], v[4:5]
	v_add_nc_u64_e32 v[2:3], s[6:7], v[4:5]
	s_mov_b32 s4, s0
	s_mov_b32 s6, s0
	s_and_b32 s5, s17, vcc_lo
	s_branch .LBB50_3
.LBB50_2:                               ;   in Loop: Header=BB50_3 Depth=1
	s_wait_xcnt 0x0
	s_or_b32 exec_lo, exec_lo, s7
	s_add_co_i32 s2, s2, 0x10000
	s_delay_alu instid0(SALU_CYCLE_1)
	s_cmp_lt_u32 s2, s16
	s_cbranch_scc0 .LBB50_5
.LBB50_3:                               ; =>This Inner Loop Header: Depth=1
	s_and_saveexec_b32 s7, s5
	s_cbranch_execz .LBB50_2
; %bb.4:                                ;   in Loop: Header=BB50_3 Depth=1
	s_mul_u64 s[10:11], s[14:15], s[2:3]
	s_mul_u64 s[12:13], s[8:9], s[2:3]
	v_lshl_add_u64 v[12:13], s[10:11], 4, v[2:3]
	v_lshl_add_u64 v[14:15], s[12:13], 4, v[0:1]
	global_load_b128 v[4:7], v[12:13], off
	global_load_b128 v[8:11], v[14:15], off
	s_wait_loadcnt 0x0
	v_pk_fma_f16 v7, s6, v11, v7
	v_pk_fma_f16 v6, s4, v10, v6
	;; [unrolled: 1-line block ×4, first 2 shown]
	global_store_b128 v[12:13], v[4:7], off
	s_branch .LBB50_2
.LBB50_5:
	s_endpgm
	.section	.rodata,"a",@progbits
	.p2align	6, 0x0
	.amdhsa_kernel _ZL26rocblas_haxpy_mlt_8_kernelILi256EDF16_PK19rocblas_complex_numIdEPS1_EviT0_lT1_llT2_lli
		.amdhsa_group_segment_fixed_size 0
		.amdhsa_private_segment_fixed_size 0
		.amdhsa_kernarg_size 68
		.amdhsa_user_sgpr_count 2
		.amdhsa_user_sgpr_dispatch_ptr 0
		.amdhsa_user_sgpr_queue_ptr 0
		.amdhsa_user_sgpr_kernarg_segment_ptr 1
		.amdhsa_user_sgpr_dispatch_id 0
		.amdhsa_user_sgpr_kernarg_preload_length 0
		.amdhsa_user_sgpr_kernarg_preload_offset 0
		.amdhsa_user_sgpr_private_segment_size 0
		.amdhsa_wavefront_size32 1
		.amdhsa_uses_dynamic_stack 0
		.amdhsa_enable_private_segment 0
		.amdhsa_system_sgpr_workgroup_id_x 1
		.amdhsa_system_sgpr_workgroup_id_y 0
		.amdhsa_system_sgpr_workgroup_id_z 1
		.amdhsa_system_sgpr_workgroup_info 0
		.amdhsa_system_vgpr_workitem_id 0
		.amdhsa_next_free_vgpr 16
		.amdhsa_next_free_sgpr 20
		.amdhsa_named_barrier_count 0
		.amdhsa_reserve_vcc 1
		.amdhsa_float_round_mode_32 0
		.amdhsa_float_round_mode_16_64 0
		.amdhsa_float_denorm_mode_32 3
		.amdhsa_float_denorm_mode_16_64 3
		.amdhsa_fp16_overflow 0
		.amdhsa_memory_ordered 1
		.amdhsa_forward_progress 1
		.amdhsa_inst_pref_size 3
		.amdhsa_round_robin_scheduling 0
		.amdhsa_exception_fp_ieee_invalid_op 0
		.amdhsa_exception_fp_denorm_src 0
		.amdhsa_exception_fp_ieee_div_zero 0
		.amdhsa_exception_fp_ieee_overflow 0
		.amdhsa_exception_fp_ieee_underflow 0
		.amdhsa_exception_fp_ieee_inexact 0
		.amdhsa_exception_int_div_zero 0
	.end_amdhsa_kernel
	.section	.text._ZL26rocblas_haxpy_mlt_8_kernelILi256EDF16_PK19rocblas_complex_numIdEPS1_EviT0_lT1_llT2_lli,"axG",@progbits,_ZL26rocblas_haxpy_mlt_8_kernelILi256EDF16_PK19rocblas_complex_numIdEPS1_EviT0_lT1_llT2_lli,comdat
.Lfunc_end50:
	.size	_ZL26rocblas_haxpy_mlt_8_kernelILi256EDF16_PK19rocblas_complex_numIdEPS1_EviT0_lT1_llT2_lli, .Lfunc_end50-_ZL26rocblas_haxpy_mlt_8_kernelILi256EDF16_PK19rocblas_complex_numIdEPS1_EviT0_lT1_llT2_lli
                                        ; -- End function
	.set _ZL26rocblas_haxpy_mlt_8_kernelILi256EDF16_PK19rocblas_complex_numIdEPS1_EviT0_lT1_llT2_lli.num_vgpr, 16
	.set _ZL26rocblas_haxpy_mlt_8_kernelILi256EDF16_PK19rocblas_complex_numIdEPS1_EviT0_lT1_llT2_lli.num_agpr, 0
	.set _ZL26rocblas_haxpy_mlt_8_kernelILi256EDF16_PK19rocblas_complex_numIdEPS1_EviT0_lT1_llT2_lli.numbered_sgpr, 20
	.set _ZL26rocblas_haxpy_mlt_8_kernelILi256EDF16_PK19rocblas_complex_numIdEPS1_EviT0_lT1_llT2_lli.num_named_barrier, 0
	.set _ZL26rocblas_haxpy_mlt_8_kernelILi256EDF16_PK19rocblas_complex_numIdEPS1_EviT0_lT1_llT2_lli.private_seg_size, 0
	.set _ZL26rocblas_haxpy_mlt_8_kernelILi256EDF16_PK19rocblas_complex_numIdEPS1_EviT0_lT1_llT2_lli.uses_vcc, 1
	.set _ZL26rocblas_haxpy_mlt_8_kernelILi256EDF16_PK19rocblas_complex_numIdEPS1_EviT0_lT1_llT2_lli.uses_flat_scratch, 0
	.set _ZL26rocblas_haxpy_mlt_8_kernelILi256EDF16_PK19rocblas_complex_numIdEPS1_EviT0_lT1_llT2_lli.has_dyn_sized_stack, 0
	.set _ZL26rocblas_haxpy_mlt_8_kernelILi256EDF16_PK19rocblas_complex_numIdEPS1_EviT0_lT1_llT2_lli.has_recursion, 0
	.set _ZL26rocblas_haxpy_mlt_8_kernelILi256EDF16_PK19rocblas_complex_numIdEPS1_EviT0_lT1_llT2_lli.has_indirect_call, 0
	.section	.AMDGPU.csdata,"",@progbits
; Kernel info:
; codeLenInByte = 384
; TotalNumSgprs: 22
; NumVgprs: 16
; ScratchSize: 0
; MemoryBound: 1
; FloatMode: 240
; IeeeMode: 1
; LDSByteSize: 0 bytes/workgroup (compile time only)
; SGPRBlocks: 0
; VGPRBlocks: 0
; NumSGPRsForWavesPerEU: 22
; NumVGPRsForWavesPerEU: 16
; NamedBarCnt: 0
; Occupancy: 16
; WaveLimiterHint : 0
; COMPUTE_PGM_RSRC2:SCRATCH_EN: 0
; COMPUTE_PGM_RSRC2:USER_SGPR: 2
; COMPUTE_PGM_RSRC2:TRAP_HANDLER: 0
; COMPUTE_PGM_RSRC2:TGID_X_EN: 1
; COMPUTE_PGM_RSRC2:TGID_Y_EN: 0
; COMPUTE_PGM_RSRC2:TGID_Z_EN: 1
; COMPUTE_PGM_RSRC2:TIDIG_COMP_CNT: 0
	.section	.text._ZL26rocblas_haxpy_mod_8_kernelILi256E19rocblas_complex_numIdEPKS1_PS1_EviT0_lT1_llT2_lli,"axG",@progbits,_ZL26rocblas_haxpy_mod_8_kernelILi256E19rocblas_complex_numIdEPKS1_PS1_EviT0_lT1_llT2_lli,comdat
	.globl	_ZL26rocblas_haxpy_mod_8_kernelILi256E19rocblas_complex_numIdEPKS1_PS1_EviT0_lT1_llT2_lli ; -- Begin function _ZL26rocblas_haxpy_mod_8_kernelILi256E19rocblas_complex_numIdEPKS1_PS1_EviT0_lT1_llT2_lli
	.p2align	8
	.type	_ZL26rocblas_haxpy_mod_8_kernelILi256E19rocblas_complex_numIdEPKS1_PS1_EviT0_lT1_llT2_lli,@function
_ZL26rocblas_haxpy_mod_8_kernelILi256E19rocblas_complex_numIdEPKS1_PS1_EviT0_lT1_llT2_lli: ; @_ZL26rocblas_haxpy_mod_8_kernelILi256E19rocblas_complex_numIdEPKS1_PS1_EviT0_lT1_llT2_lli
; %bb.0:
	s_load_b32 s20, s[0:1], 0x50
	s_bfe_u32 s2, ttmp6, 0x40014
	s_lshr_b32 s3, ttmp7, 16
	s_add_co_i32 s2, s2, 1
	s_bfe_u32 s4, ttmp6, 0x40008
	s_mul_i32 s2, s3, s2
	s_getreg_b32 s21, hwreg(HW_REG_IB_STS2, 6, 4)
	s_add_co_i32 s4, s4, s2
	s_cmp_eq_u32 s21, 0
	s_cselect_b32 s2, s3, s4
	s_mov_b32 s3, 0
	s_wait_kmcnt 0x0
	s_cmp_ge_u32 s2, s20
	s_cbranch_scc1 .LBB51_5
; %bb.1:
	s_clause 0x3
	s_load_b128 s[12:15], s[0:1], 0x8
	s_load_b32 s22, s[0:1], 0x0
	s_load_b256 s[4:11], s[0:1], 0x20
	s_load_b128 s[16:19], s[0:1], 0x40
	s_wait_xcnt 0x0
	s_bfe_u32 s0, ttmp6, 0x4000c
	s_and_b32 s1, ttmp6, 15
	s_add_co_i32 s0, s0, 1
	v_mov_b32_e32 v1, 0
	s_mul_i32 s0, ttmp9, s0
	s_delay_alu instid0(SALU_CYCLE_1)
	s_add_co_i32 s1, s1, s0
	s_wait_kmcnt 0x0
	v_cmp_neq_f64_e64 s24, s[12:13], 0
	v_cmp_neq_f64_e64 s25, s[14:15], 0
	s_ashr_i32 s23, s22, 31
	s_cmp_eq_u32 s21, 0
	s_cselect_b32 s0, ttmp9, s1
	s_delay_alu instid0(SALU_CYCLE_1)
	v_lshl_or_b32 v0, s0, 8, v0
	s_lshl_b64 s[0:1], s[6:7], 4
	s_lshl_b64 s[6:7], s[16:17], 4
	s_add_nc_u64 s[0:1], s[4:5], s[0:1]
	s_add_nc_u64 s[4:5], s[10:11], s[6:7]
	v_lshlrev_b64_e32 v[2:3], 4, v[0:1]
	v_cmp_gt_i64_e32 vcc_lo, s[22:23], v[0:1]
	s_delay_alu instid0(VALU_DEP_2) | instskip(SKIP_2) | instid1(SALU_CYCLE_1)
	v_add_nc_u64_e32 v[0:1], s[0:1], v[2:3]
	v_add_nc_u64_e32 v[2:3], s[4:5], v[2:3]
	s_or_b32 s0, s24, s25
	s_and_b32 s0, vcc_lo, s0
	s_branch .LBB51_3
.LBB51_2:                               ;   in Loop: Header=BB51_3 Depth=1
	s_wait_xcnt 0x0
	s_or_b32 exec_lo, exec_lo, s1
	s_add_co_i32 s2, s2, 0x10000
	s_delay_alu instid0(SALU_CYCLE_1)
	s_cmp_lt_u32 s2, s20
	s_cbranch_scc0 .LBB51_5
.LBB51_3:                               ; =>This Inner Loop Header: Depth=1
	s_and_saveexec_b32 s1, s0
	s_cbranch_execz .LBB51_2
; %bb.4:                                ;   in Loop: Header=BB51_3 Depth=1
	s_mul_u64 s[4:5], s[8:9], s[2:3]
	s_delay_alu instid0(SALU_CYCLE_1) | instskip(SKIP_1) | instid1(SALU_CYCLE_1)
	v_lshl_add_u64 v[4:5], s[4:5], 4, v[0:1]
	s_mul_u64 s[4:5], s[18:19], s[2:3]
	v_lshl_add_u64 v[12:13], s[4:5], 4, v[2:3]
	global_load_b128 v[4:7], v[4:5], off
	global_load_b128 v[8:11], v[12:13], off
	s_wait_loadcnt 0x1
	v_mul_f64_e32 v[14:15], s[14:15], v[6:7]
	v_mul_f64_e32 v[6:7], s[12:13], v[6:7]
	s_delay_alu instid0(VALU_DEP_2) | instskip(NEXT) | instid1(VALU_DEP_2)
	v_fma_f64 v[14:15], s[12:13], v[4:5], -v[14:15]
	v_fmac_f64_e32 v[6:7], s[14:15], v[4:5]
	s_wait_loadcnt 0x0
	s_wait_xcnt 0x1
	s_delay_alu instid0(VALU_DEP_2) | instskip(NEXT) | instid1(VALU_DEP_2)
	v_add_f64_e32 v[4:5], v[8:9], v[14:15]
	v_add_f64_e32 v[6:7], v[6:7], v[10:11]
	global_store_b128 v[12:13], v[4:7], off
	s_branch .LBB51_2
.LBB51_5:
	s_endpgm
	.section	.rodata,"a",@progbits
	.p2align	6, 0x0
	.amdhsa_kernel _ZL26rocblas_haxpy_mod_8_kernelILi256E19rocblas_complex_numIdEPKS1_PS1_EviT0_lT1_llT2_lli
		.amdhsa_group_segment_fixed_size 0
		.amdhsa_private_segment_fixed_size 0
		.amdhsa_kernarg_size 84
		.amdhsa_user_sgpr_count 2
		.amdhsa_user_sgpr_dispatch_ptr 0
		.amdhsa_user_sgpr_queue_ptr 0
		.amdhsa_user_sgpr_kernarg_segment_ptr 1
		.amdhsa_user_sgpr_dispatch_id 0
		.amdhsa_user_sgpr_kernarg_preload_length 0
		.amdhsa_user_sgpr_kernarg_preload_offset 0
		.amdhsa_user_sgpr_private_segment_size 0
		.amdhsa_wavefront_size32 1
		.amdhsa_uses_dynamic_stack 0
		.amdhsa_enable_private_segment 0
		.amdhsa_system_sgpr_workgroup_id_x 1
		.amdhsa_system_sgpr_workgroup_id_y 0
		.amdhsa_system_sgpr_workgroup_id_z 1
		.amdhsa_system_sgpr_workgroup_info 0
		.amdhsa_system_vgpr_workitem_id 0
		.amdhsa_next_free_vgpr 16
		.amdhsa_next_free_sgpr 26
		.amdhsa_named_barrier_count 0
		.amdhsa_reserve_vcc 1
		.amdhsa_float_round_mode_32 0
		.amdhsa_float_round_mode_16_64 0
		.amdhsa_float_denorm_mode_32 3
		.amdhsa_float_denorm_mode_16_64 3
		.amdhsa_fp16_overflow 0
		.amdhsa_memory_ordered 1
		.amdhsa_forward_progress 1
		.amdhsa_inst_pref_size 4
		.amdhsa_round_robin_scheduling 0
		.amdhsa_exception_fp_ieee_invalid_op 0
		.amdhsa_exception_fp_denorm_src 0
		.amdhsa_exception_fp_ieee_div_zero 0
		.amdhsa_exception_fp_ieee_overflow 0
		.amdhsa_exception_fp_ieee_underflow 0
		.amdhsa_exception_fp_ieee_inexact 0
		.amdhsa_exception_int_div_zero 0
	.end_amdhsa_kernel
	.section	.text._ZL26rocblas_haxpy_mod_8_kernelILi256E19rocblas_complex_numIdEPKS1_PS1_EviT0_lT1_llT2_lli,"axG",@progbits,_ZL26rocblas_haxpy_mod_8_kernelILi256E19rocblas_complex_numIdEPKS1_PS1_EviT0_lT1_llT2_lli,comdat
.Lfunc_end51:
	.size	_ZL26rocblas_haxpy_mod_8_kernelILi256E19rocblas_complex_numIdEPKS1_PS1_EviT0_lT1_llT2_lli, .Lfunc_end51-_ZL26rocblas_haxpy_mod_8_kernelILi256E19rocblas_complex_numIdEPKS1_PS1_EviT0_lT1_llT2_lli
                                        ; -- End function
	.set _ZL26rocblas_haxpy_mod_8_kernelILi256E19rocblas_complex_numIdEPKS1_PS1_EviT0_lT1_llT2_lli.num_vgpr, 16
	.set _ZL26rocblas_haxpy_mod_8_kernelILi256E19rocblas_complex_numIdEPKS1_PS1_EviT0_lT1_llT2_lli.num_agpr, 0
	.set _ZL26rocblas_haxpy_mod_8_kernelILi256E19rocblas_complex_numIdEPKS1_PS1_EviT0_lT1_llT2_lli.numbered_sgpr, 26
	.set _ZL26rocblas_haxpy_mod_8_kernelILi256E19rocblas_complex_numIdEPKS1_PS1_EviT0_lT1_llT2_lli.num_named_barrier, 0
	.set _ZL26rocblas_haxpy_mod_8_kernelILi256E19rocblas_complex_numIdEPKS1_PS1_EviT0_lT1_llT2_lli.private_seg_size, 0
	.set _ZL26rocblas_haxpy_mod_8_kernelILi256E19rocblas_complex_numIdEPKS1_PS1_EviT0_lT1_llT2_lli.uses_vcc, 1
	.set _ZL26rocblas_haxpy_mod_8_kernelILi256E19rocblas_complex_numIdEPKS1_PS1_EviT0_lT1_llT2_lli.uses_flat_scratch, 0
	.set _ZL26rocblas_haxpy_mod_8_kernelILi256E19rocblas_complex_numIdEPKS1_PS1_EviT0_lT1_llT2_lli.has_dyn_sized_stack, 0
	.set _ZL26rocblas_haxpy_mod_8_kernelILi256E19rocblas_complex_numIdEPKS1_PS1_EviT0_lT1_llT2_lli.has_recursion, 0
	.set _ZL26rocblas_haxpy_mod_8_kernelILi256E19rocblas_complex_numIdEPKS1_PS1_EviT0_lT1_llT2_lli.has_indirect_call, 0
	.section	.AMDGPU.csdata,"",@progbits
; Kernel info:
; codeLenInByte = 388
; TotalNumSgprs: 28
; NumVgprs: 16
; ScratchSize: 0
; MemoryBound: 0
; FloatMode: 240
; IeeeMode: 1
; LDSByteSize: 0 bytes/workgroup (compile time only)
; SGPRBlocks: 0
; VGPRBlocks: 0
; NumSGPRsForWavesPerEU: 28
; NumVGPRsForWavesPerEU: 16
; NamedBarCnt: 0
; Occupancy: 16
; WaveLimiterHint : 0
; COMPUTE_PGM_RSRC2:SCRATCH_EN: 0
; COMPUTE_PGM_RSRC2:USER_SGPR: 2
; COMPUTE_PGM_RSRC2:TRAP_HANDLER: 0
; COMPUTE_PGM_RSRC2:TGID_X_EN: 1
; COMPUTE_PGM_RSRC2:TGID_Y_EN: 0
; COMPUTE_PGM_RSRC2:TGID_Z_EN: 1
; COMPUTE_PGM_RSRC2:TIDIG_COMP_CNT: 0
	.section	.text._ZL22rocblas_saxpy_2_kernelILi256E19rocblas_complex_numIdEPKS1_S3_PS1_EviT1_lT2_llT3_lli,"axG",@progbits,_ZL22rocblas_saxpy_2_kernelILi256E19rocblas_complex_numIdEPKS1_S3_PS1_EviT1_lT2_llT3_lli,comdat
	.globl	_ZL22rocblas_saxpy_2_kernelILi256E19rocblas_complex_numIdEPKS1_S3_PS1_EviT1_lT2_llT3_lli ; -- Begin function _ZL22rocblas_saxpy_2_kernelILi256E19rocblas_complex_numIdEPKS1_S3_PS1_EviT1_lT2_llT3_lli
	.p2align	8
	.type	_ZL22rocblas_saxpy_2_kernelILi256E19rocblas_complex_numIdEPKS1_S3_PS1_EviT1_lT2_llT3_lli,@function
_ZL22rocblas_saxpy_2_kernelILi256E19rocblas_complex_numIdEPKS1_S3_PS1_EviT1_lT2_llT3_lli: ; @_ZL22rocblas_saxpy_2_kernelILi256E19rocblas_complex_numIdEPKS1_S3_PS1_EviT1_lT2_llT3_lli
; %bb.0:
	s_load_b32 s20, s[0:1], 0x48
	s_bfe_u32 s2, ttmp6, 0x40014
	s_lshr_b32 s3, ttmp7, 16
	s_add_co_i32 s2, s2, 1
	s_bfe_u32 s4, ttmp6, 0x40008
	s_mul_i32 s2, s3, s2
	s_getreg_b32 s16, hwreg(HW_REG_IB_STS2, 6, 4)
	s_add_co_i32 s4, s4, s2
	s_cmp_eq_u32 s16, 0
	s_cselect_b32 s2, s3, s4
	s_mov_b32 s3, 0
	s_wait_kmcnt 0x0
	s_cmp_ge_u32 s2, s20
	s_cbranch_scc1 .LBB52_9
; %bb.1:
	s_clause 0x4
	s_load_b32 s17, s[0:1], 0x0
	s_load_b128 s[4:7], s[0:1], 0x20
	s_load_b128 s[8:11], s[0:1], 0x38
	s_load_b64 s[18:19], s[0:1], 0x18
	s_load_b64 s[22:23], s[0:1], 0x30
	s_bfe_u32 s21, ttmp6, 0x4000c
	s_load_b128 s[12:15], s[0:1], 0x8
	s_add_co_i32 s21, s21, 1
	s_wait_xcnt 0x0
	s_and_b32 s0, ttmp6, 15
	s_mul_i32 s1, ttmp9, s21
	v_dual_mov_b32 v1, 0 :: v_dual_lshlrev_b32 v0, 1, v0
	s_add_co_i32 s0, s0, s1
	s_cmp_eq_u32 s16, 0
	s_cselect_b32 s0, ttmp9, s0
	s_delay_alu instid0(VALU_DEP_1) | instid1(SALU_CYCLE_1)
	v_lshl_or_b32 v0, s0, 9, v0
	s_wait_kmcnt 0x0
	s_add_co_i32 s0, s17, -1
	s_lshl_b64 s[4:5], s[4:5], 4
	s_ashr_i32 s1, s0, 31
	s_lshl_b64 s[8:9], s[8:9], 4
	v_cmp_eq_u64_e32 vcc_lo, s[0:1], v[0:1]
	v_cmp_gt_i64_e64 s0, s[0:1], v[0:1]
	v_lshlrev_b64_e32 v[0:1], 4, v[0:1]
	s_bitcmp1_b32 s17, 0
	s_add_nc_u64 s[4:5], s[18:19], s[4:5]
	s_cselect_b32 s1, -1, 0
	s_add_nc_u64 s[8:9], s[22:23], s[8:9]
	s_and_b32 s1, s1, vcc_lo
	s_branch .LBB52_4
.LBB52_2:                               ;   in Loop: Header=BB52_4 Depth=1
	s_wait_xcnt 0x0
	s_or_b32 exec_lo, exec_lo, s21
.LBB52_3:                               ;   in Loop: Header=BB52_4 Depth=1
	s_add_co_i32 s2, s2, 0x10000
	s_delay_alu instid0(SALU_CYCLE_1)
	s_cmp_lt_u32 s2, s20
	s_cbranch_scc0 .LBB52_9
.LBB52_4:                               ; =>This Inner Loop Header: Depth=1
	s_mul_u64 s[16:17], s[14:15], s[2:3]
	s_delay_alu instid0(SALU_CYCLE_1) | instskip(NEXT) | instid1(SALU_CYCLE_1)
	s_lshl_b64 s[16:17], s[16:17], 4
	s_add_nc_u64 s[22:23], s[12:13], s[16:17]
	s_load_b128 s[16:19], s[22:23], 0x0
	s_wait_kmcnt 0x0
	v_cmp_neq_f64_e64 s21, s[16:17], 0
	s_wait_xcnt 0x0
	v_cmp_neq_f64_e64 s22, s[18:19], 0
	s_or_b32 s21, s21, s22
	s_delay_alu instid0(SALU_CYCLE_1)
	s_and_not1_b32 vcc_lo, exec_lo, s21
	s_cbranch_vccnz .LBB52_3
; %bb.5:                                ;   in Loop: Header=BB52_4 Depth=1
	s_mul_u64 s[22:23], s[10:11], s[2:3]
	s_mul_u64 s[24:25], s[6:7], s[2:3]
	s_lshl_b64 s[22:23], s[22:23], 4
	s_lshl_b64 s[24:25], s[24:25], 4
	s_add_nc_u64 s[22:23], s[8:9], s[22:23]
	s_add_nc_u64 s[24:25], s[4:5], s[24:25]
	v_add_nc_u64_e32 v[2:3], s[22:23], v[0:1]
	v_add_nc_u64_e32 v[4:5], s[24:25], v[0:1]
	s_and_saveexec_b32 s21, s0
	s_cbranch_execz .LBB52_7
; %bb.6:                                ;   in Loop: Header=BB52_4 Depth=1
	s_clause 0x1
	global_load_b128 v[6:9], v[4:5], off
	global_load_b128 v[10:13], v[4:5], off offset:16
	s_clause 0x1
	global_load_b128 v[14:17], v[2:3], off
	global_load_b128 v[18:21], v[2:3], off offset:16
	s_wait_loadcnt 0x3
	v_mul_f64_e32 v[22:23], s[18:19], v[8:9]
	v_mul_f64_e32 v[8:9], s[16:17], v[8:9]
	s_wait_loadcnt 0x2
	v_mul_f64_e32 v[24:25], s[18:19], v[12:13]
	v_mul_f64_e32 v[12:13], s[16:17], v[12:13]
	s_delay_alu instid0(VALU_DEP_4) | instskip(NEXT) | instid1(VALU_DEP_4)
	v_fma_f64 v[22:23], s[16:17], v[6:7], -v[22:23]
	v_fmac_f64_e32 v[8:9], s[18:19], v[6:7]
	s_delay_alu instid0(VALU_DEP_4) | instskip(NEXT) | instid1(VALU_DEP_4)
	v_fma_f64 v[24:25], s[16:17], v[10:11], -v[24:25]
	v_fmac_f64_e32 v[12:13], s[18:19], v[10:11]
	s_wait_loadcnt 0x1
	s_delay_alu instid0(VALU_DEP_4) | instskip(NEXT) | instid1(VALU_DEP_4)
	v_add_f64_e32 v[6:7], v[14:15], v[22:23]
	v_add_f64_e32 v[8:9], v[8:9], v[16:17]
	s_wait_loadcnt 0x0
	s_delay_alu instid0(VALU_DEP_4) | instskip(NEXT) | instid1(VALU_DEP_4)
	v_add_f64_e32 v[10:11], v[18:19], v[24:25]
	v_add_f64_e32 v[12:13], v[12:13], v[20:21]
	s_clause 0x1
	global_store_b128 v[2:3], v[6:9], off
	global_store_b128 v[2:3], v[10:13], off offset:16
.LBB52_7:                               ;   in Loop: Header=BB52_4 Depth=1
	s_wait_xcnt 0x0
	s_or_b32 exec_lo, exec_lo, s21
	s_and_saveexec_b32 s21, s1
	s_cbranch_execz .LBB52_2
; %bb.8:                                ;   in Loop: Header=BB52_4 Depth=1
	global_load_b128 v[6:9], v[4:5], off
	global_load_b128 v[10:13], v[2:3], off
	s_wait_loadcnt 0x1
	s_wait_xcnt 0x1
	v_mul_f64_e32 v[4:5], s[18:19], v[8:9]
	v_mul_f64_e32 v[8:9], s[16:17], v[8:9]
	s_delay_alu instid0(VALU_DEP_2) | instskip(NEXT) | instid1(VALU_DEP_2)
	v_fma_f64 v[4:5], s[16:17], v[6:7], -v[4:5]
	v_fmac_f64_e32 v[8:9], s[18:19], v[6:7]
	s_wait_loadcnt 0x0
	s_delay_alu instid0(VALU_DEP_2) | instskip(NEXT) | instid1(VALU_DEP_2)
	v_add_f64_e32 v[4:5], v[10:11], v[4:5]
	v_add_f64_e32 v[6:7], v[8:9], v[12:13]
	global_store_b128 v[2:3], v[4:7], off
	s_branch .LBB52_2
.LBB52_9:
	s_endpgm
	.section	.rodata,"a",@progbits
	.p2align	6, 0x0
	.amdhsa_kernel _ZL22rocblas_saxpy_2_kernelILi256E19rocblas_complex_numIdEPKS1_S3_PS1_EviT1_lT2_llT3_lli
		.amdhsa_group_segment_fixed_size 0
		.amdhsa_private_segment_fixed_size 0
		.amdhsa_kernarg_size 76
		.amdhsa_user_sgpr_count 2
		.amdhsa_user_sgpr_dispatch_ptr 0
		.amdhsa_user_sgpr_queue_ptr 0
		.amdhsa_user_sgpr_kernarg_segment_ptr 1
		.amdhsa_user_sgpr_dispatch_id 0
		.amdhsa_user_sgpr_kernarg_preload_length 0
		.amdhsa_user_sgpr_kernarg_preload_offset 0
		.amdhsa_user_sgpr_private_segment_size 0
		.amdhsa_wavefront_size32 1
		.amdhsa_uses_dynamic_stack 0
		.amdhsa_enable_private_segment 0
		.amdhsa_system_sgpr_workgroup_id_x 1
		.amdhsa_system_sgpr_workgroup_id_y 0
		.amdhsa_system_sgpr_workgroup_id_z 1
		.amdhsa_system_sgpr_workgroup_info 0
		.amdhsa_system_vgpr_workitem_id 0
		.amdhsa_next_free_vgpr 26
		.amdhsa_next_free_sgpr 26
		.amdhsa_named_barrier_count 0
		.amdhsa_reserve_vcc 1
		.amdhsa_float_round_mode_32 0
		.amdhsa_float_round_mode_16_64 0
		.amdhsa_float_denorm_mode_32 3
		.amdhsa_float_denorm_mode_16_64 3
		.amdhsa_fp16_overflow 0
		.amdhsa_memory_ordered 1
		.amdhsa_forward_progress 1
		.amdhsa_inst_pref_size 6
		.amdhsa_round_robin_scheduling 0
		.amdhsa_exception_fp_ieee_invalid_op 0
		.amdhsa_exception_fp_denorm_src 0
		.amdhsa_exception_fp_ieee_div_zero 0
		.amdhsa_exception_fp_ieee_overflow 0
		.amdhsa_exception_fp_ieee_underflow 0
		.amdhsa_exception_fp_ieee_inexact 0
		.amdhsa_exception_int_div_zero 0
	.end_amdhsa_kernel
	.section	.text._ZL22rocblas_saxpy_2_kernelILi256E19rocblas_complex_numIdEPKS1_S3_PS1_EviT1_lT2_llT3_lli,"axG",@progbits,_ZL22rocblas_saxpy_2_kernelILi256E19rocblas_complex_numIdEPKS1_S3_PS1_EviT1_lT2_llT3_lli,comdat
.Lfunc_end52:
	.size	_ZL22rocblas_saxpy_2_kernelILi256E19rocblas_complex_numIdEPKS1_S3_PS1_EviT1_lT2_llT3_lli, .Lfunc_end52-_ZL22rocblas_saxpy_2_kernelILi256E19rocblas_complex_numIdEPKS1_S3_PS1_EviT1_lT2_llT3_lli
                                        ; -- End function
	.set _ZL22rocblas_saxpy_2_kernelILi256E19rocblas_complex_numIdEPKS1_S3_PS1_EviT1_lT2_llT3_lli.num_vgpr, 26
	.set _ZL22rocblas_saxpy_2_kernelILi256E19rocblas_complex_numIdEPKS1_S3_PS1_EviT1_lT2_llT3_lli.num_agpr, 0
	.set _ZL22rocblas_saxpy_2_kernelILi256E19rocblas_complex_numIdEPKS1_S3_PS1_EviT1_lT2_llT3_lli.numbered_sgpr, 26
	.set _ZL22rocblas_saxpy_2_kernelILi256E19rocblas_complex_numIdEPKS1_S3_PS1_EviT1_lT2_llT3_lli.num_named_barrier, 0
	.set _ZL22rocblas_saxpy_2_kernelILi256E19rocblas_complex_numIdEPKS1_S3_PS1_EviT1_lT2_llT3_lli.private_seg_size, 0
	.set _ZL22rocblas_saxpy_2_kernelILi256E19rocblas_complex_numIdEPKS1_S3_PS1_EviT1_lT2_llT3_lli.uses_vcc, 1
	.set _ZL22rocblas_saxpy_2_kernelILi256E19rocblas_complex_numIdEPKS1_S3_PS1_EviT1_lT2_llT3_lli.uses_flat_scratch, 0
	.set _ZL22rocblas_saxpy_2_kernelILi256E19rocblas_complex_numIdEPKS1_S3_PS1_EviT1_lT2_llT3_lli.has_dyn_sized_stack, 0
	.set _ZL22rocblas_saxpy_2_kernelILi256E19rocblas_complex_numIdEPKS1_S3_PS1_EviT1_lT2_llT3_lli.has_recursion, 0
	.set _ZL22rocblas_saxpy_2_kernelILi256E19rocblas_complex_numIdEPKS1_S3_PS1_EviT1_lT2_llT3_lli.has_indirect_call, 0
	.section	.AMDGPU.csdata,"",@progbits
; Kernel info:
; codeLenInByte = 648
; TotalNumSgprs: 28
; NumVgprs: 26
; ScratchSize: 0
; MemoryBound: 0
; FloatMode: 240
; IeeeMode: 1
; LDSByteSize: 0 bytes/workgroup (compile time only)
; SGPRBlocks: 0
; VGPRBlocks: 1
; NumSGPRsForWavesPerEU: 28
; NumVGPRsForWavesPerEU: 26
; NamedBarCnt: 0
; Occupancy: 16
; WaveLimiterHint : 0
; COMPUTE_PGM_RSRC2:SCRATCH_EN: 0
; COMPUTE_PGM_RSRC2:USER_SGPR: 2
; COMPUTE_PGM_RSRC2:TRAP_HANDLER: 0
; COMPUTE_PGM_RSRC2:TGID_X_EN: 1
; COMPUTE_PGM_RSRC2:TGID_Y_EN: 0
; COMPUTE_PGM_RSRC2:TGID_Z_EN: 1
; COMPUTE_PGM_RSRC2:TIDIG_COMP_CNT: 0
	.section	.text._ZL22rocblas_saxpy_2_kernelILi256E19rocblas_complex_numIdES1_PKS1_PS1_EviT1_lT2_llT3_lli,"axG",@progbits,_ZL22rocblas_saxpy_2_kernelILi256E19rocblas_complex_numIdES1_PKS1_PS1_EviT1_lT2_llT3_lli,comdat
	.globl	_ZL22rocblas_saxpy_2_kernelILi256E19rocblas_complex_numIdES1_PKS1_PS1_EviT1_lT2_llT3_lli ; -- Begin function _ZL22rocblas_saxpy_2_kernelILi256E19rocblas_complex_numIdES1_PKS1_PS1_EviT1_lT2_llT3_lli
	.p2align	8
	.type	_ZL22rocblas_saxpy_2_kernelILi256E19rocblas_complex_numIdES1_PKS1_PS1_EviT1_lT2_llT3_lli,@function
_ZL22rocblas_saxpy_2_kernelILi256E19rocblas_complex_numIdES1_PKS1_PS1_EviT1_lT2_llT3_lli: ; @_ZL22rocblas_saxpy_2_kernelILi256E19rocblas_complex_numIdES1_PKS1_PS1_EviT1_lT2_llT3_lli
; %bb.0:
	s_load_b32 s16, s[0:1], 0x50
	s_bfe_u32 s2, ttmp6, 0x40014
	s_lshr_b32 s3, ttmp7, 16
	s_add_co_i32 s2, s2, 1
	s_bfe_u32 s4, ttmp6, 0x40008
	s_mul_i32 s2, s3, s2
	s_getreg_b32 s17, hwreg(HW_REG_IB_STS2, 6, 4)
	s_add_co_i32 s4, s4, s2
	s_cmp_eq_u32 s17, 0
	s_cselect_b32 s2, s3, s4
	s_mov_b32 s3, 0
	s_wait_kmcnt 0x0
	s_cmp_ge_u32 s2, s16
	s_cbranch_scc1 .LBB53_9
; %bb.1:
	s_clause 0x5
	s_load_b128 s[4:7], s[0:1], 0x8
	s_load_b64 s[20:21], s[0:1], 0x38
	s_load_b128 s[8:11], s[0:1], 0x28
	s_load_b32 s26, s[0:1], 0x0
	s_load_b128 s[12:15], s[0:1], 0x40
	s_load_b64 s[18:19], s[0:1], 0x20
	s_bfe_u32 s22, ttmp6, 0x4000c
	s_wait_xcnt 0x0
	s_and_b32 s0, ttmp6, 15
	s_add_co_i32 s22, s22, 1
	v_dual_mov_b32 v1, 0 :: v_dual_lshlrev_b32 v0, 1, v0
	s_mul_i32 s1, ttmp9, s22
	s_delay_alu instid0(SALU_CYCLE_1) | instskip(SKIP_2) | instid1(SALU_CYCLE_1)
	s_add_co_i32 s0, s0, s1
	s_cmp_eq_u32 s17, 0
	s_cselect_b32 s0, ttmp9, s0
	v_lshl_or_b32 v0, s0, 9, v0
	s_wait_kmcnt 0x0
	s_lshl_b64 s[0:1], s[8:9], 4
	v_cmp_neq_f64_e64 s24, s[4:5], 0
	v_cmp_neq_f64_e64 s25, s[6:7], 0
	s_add_co_i32 s22, s26, -1
	s_lshl_b64 s[12:13], s[12:13], 4
	s_ashr_i32 s23, s22, 31
	s_add_nc_u64 s[8:9], s[18:19], s[0:1]
	v_cmp_eq_u64_e32 vcc_lo, s[22:23], v[0:1]
	v_cmp_gt_i64_e64 s0, s[22:23], v[0:1]
	v_lshlrev_b64_e32 v[0:1], 4, v[0:1]
	s_add_nc_u64 s[12:13], s[20:21], s[12:13]
	s_or_b32 s1, s24, s25
	s_bitcmp1_b32 s26, 0
	s_cselect_b32 s17, -1, 0
	s_delay_alu instid0(SALU_CYCLE_1)
	s_and_b32 s17, s17, vcc_lo
	s_branch .LBB53_4
.LBB53_2:                               ;   in Loop: Header=BB53_4 Depth=1
	s_wait_xcnt 0x0
	s_or_b32 exec_lo, exec_lo, s18
.LBB53_3:                               ;   in Loop: Header=BB53_4 Depth=1
	s_add_co_i32 s2, s2, 0x10000
	s_delay_alu instid0(SALU_CYCLE_1)
	s_cmp_lt_u32 s2, s16
	s_cbranch_scc0 .LBB53_9
.LBB53_4:                               ; =>This Inner Loop Header: Depth=1
	s_and_not1_b32 vcc_lo, exec_lo, s1
	s_cbranch_vccnz .LBB53_3
; %bb.5:                                ;   in Loop: Header=BB53_4 Depth=1
	s_mul_u64 s[18:19], s[14:15], s[2:3]
	s_mul_u64 s[20:21], s[10:11], s[2:3]
	s_lshl_b64 s[18:19], s[18:19], 4
	s_lshl_b64 s[20:21], s[20:21], 4
	s_add_nc_u64 s[18:19], s[12:13], s[18:19]
	s_add_nc_u64 s[20:21], s[8:9], s[20:21]
	v_add_nc_u64_e32 v[2:3], s[18:19], v[0:1]
	v_add_nc_u64_e32 v[4:5], s[20:21], v[0:1]
	s_and_saveexec_b32 s18, s0
	s_cbranch_execz .LBB53_7
; %bb.6:                                ;   in Loop: Header=BB53_4 Depth=1
	s_clause 0x1
	global_load_b128 v[6:9], v[4:5], off
	global_load_b128 v[10:13], v[4:5], off offset:16
	s_clause 0x1
	global_load_b128 v[14:17], v[2:3], off
	global_load_b128 v[18:21], v[2:3], off offset:16
	s_wait_loadcnt 0x3
	v_mul_f64_e32 v[22:23], s[6:7], v[8:9]
	v_mul_f64_e32 v[8:9], s[4:5], v[8:9]
	s_wait_loadcnt 0x2
	v_mul_f64_e32 v[24:25], s[6:7], v[12:13]
	v_mul_f64_e32 v[12:13], s[4:5], v[12:13]
	s_delay_alu instid0(VALU_DEP_4) | instskip(NEXT) | instid1(VALU_DEP_4)
	v_fma_f64 v[22:23], s[4:5], v[6:7], -v[22:23]
	v_fmac_f64_e32 v[8:9], s[6:7], v[6:7]
	s_delay_alu instid0(VALU_DEP_4) | instskip(NEXT) | instid1(VALU_DEP_4)
	v_fma_f64 v[24:25], s[4:5], v[10:11], -v[24:25]
	v_fmac_f64_e32 v[12:13], s[6:7], v[10:11]
	s_wait_loadcnt 0x1
	s_delay_alu instid0(VALU_DEP_4) | instskip(NEXT) | instid1(VALU_DEP_4)
	v_add_f64_e32 v[6:7], v[14:15], v[22:23]
	v_add_f64_e32 v[8:9], v[8:9], v[16:17]
	s_wait_loadcnt 0x0
	s_delay_alu instid0(VALU_DEP_4) | instskip(NEXT) | instid1(VALU_DEP_4)
	v_add_f64_e32 v[10:11], v[18:19], v[24:25]
	v_add_f64_e32 v[12:13], v[12:13], v[20:21]
	s_clause 0x1
	global_store_b128 v[2:3], v[6:9], off
	global_store_b128 v[2:3], v[10:13], off offset:16
.LBB53_7:                               ;   in Loop: Header=BB53_4 Depth=1
	s_wait_xcnt 0x0
	s_or_b32 exec_lo, exec_lo, s18
	s_and_saveexec_b32 s18, s17
	s_cbranch_execz .LBB53_2
; %bb.8:                                ;   in Loop: Header=BB53_4 Depth=1
	global_load_b128 v[6:9], v[4:5], off
	global_load_b128 v[10:13], v[2:3], off
	s_wait_loadcnt 0x1
	s_wait_xcnt 0x1
	v_mul_f64_e32 v[4:5], s[6:7], v[8:9]
	v_mul_f64_e32 v[8:9], s[4:5], v[8:9]
	s_delay_alu instid0(VALU_DEP_2) | instskip(NEXT) | instid1(VALU_DEP_2)
	v_fma_f64 v[4:5], s[4:5], v[6:7], -v[4:5]
	v_fmac_f64_e32 v[8:9], s[6:7], v[6:7]
	s_wait_loadcnt 0x0
	s_delay_alu instid0(VALU_DEP_2) | instskip(NEXT) | instid1(VALU_DEP_2)
	v_add_f64_e32 v[4:5], v[10:11], v[4:5]
	v_add_f64_e32 v[6:7], v[8:9], v[12:13]
	global_store_b128 v[2:3], v[4:7], off
	s_branch .LBB53_2
.LBB53_9:
	s_endpgm
	.section	.rodata,"a",@progbits
	.p2align	6, 0x0
	.amdhsa_kernel _ZL22rocblas_saxpy_2_kernelILi256E19rocblas_complex_numIdES1_PKS1_PS1_EviT1_lT2_llT3_lli
		.amdhsa_group_segment_fixed_size 0
		.amdhsa_private_segment_fixed_size 0
		.amdhsa_kernarg_size 84
		.amdhsa_user_sgpr_count 2
		.amdhsa_user_sgpr_dispatch_ptr 0
		.amdhsa_user_sgpr_queue_ptr 0
		.amdhsa_user_sgpr_kernarg_segment_ptr 1
		.amdhsa_user_sgpr_dispatch_id 0
		.amdhsa_user_sgpr_kernarg_preload_length 0
		.amdhsa_user_sgpr_kernarg_preload_offset 0
		.amdhsa_user_sgpr_private_segment_size 0
		.amdhsa_wavefront_size32 1
		.amdhsa_uses_dynamic_stack 0
		.amdhsa_enable_private_segment 0
		.amdhsa_system_sgpr_workgroup_id_x 1
		.amdhsa_system_sgpr_workgroup_id_y 0
		.amdhsa_system_sgpr_workgroup_id_z 1
		.amdhsa_system_sgpr_workgroup_info 0
		.amdhsa_system_vgpr_workitem_id 0
		.amdhsa_next_free_vgpr 26
		.amdhsa_next_free_sgpr 27
		.amdhsa_named_barrier_count 0
		.amdhsa_reserve_vcc 1
		.amdhsa_float_round_mode_32 0
		.amdhsa_float_round_mode_16_64 0
		.amdhsa_float_denorm_mode_32 3
		.amdhsa_float_denorm_mode_16_64 3
		.amdhsa_fp16_overflow 0
		.amdhsa_memory_ordered 1
		.amdhsa_forward_progress 1
		.amdhsa_inst_pref_size 5
		.amdhsa_round_robin_scheduling 0
		.amdhsa_exception_fp_ieee_invalid_op 0
		.amdhsa_exception_fp_denorm_src 0
		.amdhsa_exception_fp_ieee_div_zero 0
		.amdhsa_exception_fp_ieee_overflow 0
		.amdhsa_exception_fp_ieee_underflow 0
		.amdhsa_exception_fp_ieee_inexact 0
		.amdhsa_exception_int_div_zero 0
	.end_amdhsa_kernel
	.section	.text._ZL22rocblas_saxpy_2_kernelILi256E19rocblas_complex_numIdES1_PKS1_PS1_EviT1_lT2_llT3_lli,"axG",@progbits,_ZL22rocblas_saxpy_2_kernelILi256E19rocblas_complex_numIdES1_PKS1_PS1_EviT1_lT2_llT3_lli,comdat
.Lfunc_end53:
	.size	_ZL22rocblas_saxpy_2_kernelILi256E19rocblas_complex_numIdES1_PKS1_PS1_EviT1_lT2_llT3_lli, .Lfunc_end53-_ZL22rocblas_saxpy_2_kernelILi256E19rocblas_complex_numIdES1_PKS1_PS1_EviT1_lT2_llT3_lli
                                        ; -- End function
	.set _ZL22rocblas_saxpy_2_kernelILi256E19rocblas_complex_numIdES1_PKS1_PS1_EviT1_lT2_llT3_lli.num_vgpr, 26
	.set _ZL22rocblas_saxpy_2_kernelILi256E19rocblas_complex_numIdES1_PKS1_PS1_EviT1_lT2_llT3_lli.num_agpr, 0
	.set _ZL22rocblas_saxpy_2_kernelILi256E19rocblas_complex_numIdES1_PKS1_PS1_EviT1_lT2_llT3_lli.numbered_sgpr, 27
	.set _ZL22rocblas_saxpy_2_kernelILi256E19rocblas_complex_numIdES1_PKS1_PS1_EviT1_lT2_llT3_lli.num_named_barrier, 0
	.set _ZL22rocblas_saxpy_2_kernelILi256E19rocblas_complex_numIdES1_PKS1_PS1_EviT1_lT2_llT3_lli.private_seg_size, 0
	.set _ZL22rocblas_saxpy_2_kernelILi256E19rocblas_complex_numIdES1_PKS1_PS1_EviT1_lT2_llT3_lli.uses_vcc, 1
	.set _ZL22rocblas_saxpy_2_kernelILi256E19rocblas_complex_numIdES1_PKS1_PS1_EviT1_lT2_llT3_lli.uses_flat_scratch, 0
	.set _ZL22rocblas_saxpy_2_kernelILi256E19rocblas_complex_numIdES1_PKS1_PS1_EviT1_lT2_llT3_lli.has_dyn_sized_stack, 0
	.set _ZL22rocblas_saxpy_2_kernelILi256E19rocblas_complex_numIdES1_PKS1_PS1_EviT1_lT2_llT3_lli.has_recursion, 0
	.set _ZL22rocblas_saxpy_2_kernelILi256E19rocblas_complex_numIdES1_PKS1_PS1_EviT1_lT2_llT3_lli.has_indirect_call, 0
	.section	.AMDGPU.csdata,"",@progbits
; Kernel info:
; codeLenInByte = 616
; TotalNumSgprs: 29
; NumVgprs: 26
; ScratchSize: 0
; MemoryBound: 0
; FloatMode: 240
; IeeeMode: 1
; LDSByteSize: 0 bytes/workgroup (compile time only)
; SGPRBlocks: 0
; VGPRBlocks: 1
; NumSGPRsForWavesPerEU: 29
; NumVGPRsForWavesPerEU: 26
; NamedBarCnt: 0
; Occupancy: 16
; WaveLimiterHint : 0
; COMPUTE_PGM_RSRC2:SCRATCH_EN: 0
; COMPUTE_PGM_RSRC2:USER_SGPR: 2
; COMPUTE_PGM_RSRC2:TRAP_HANDLER: 0
; COMPUTE_PGM_RSRC2:TGID_X_EN: 1
; COMPUTE_PGM_RSRC2:TGID_Y_EN: 0
; COMPUTE_PGM_RSRC2:TGID_Z_EN: 1
; COMPUTE_PGM_RSRC2:TIDIG_COMP_CNT: 0
	.section	.text._ZL27rocblas_axpy_kernel_batchedIiLi128ELi8E19rocblas_complex_numIdEPKS1_S3_PS1_EviT3_lT4_lT_lT5_lS7_li,"axG",@progbits,_ZL27rocblas_axpy_kernel_batchedIiLi128ELi8E19rocblas_complex_numIdEPKS1_S3_PS1_EviT3_lT4_lT_lT5_lS7_li,comdat
	.globl	_ZL27rocblas_axpy_kernel_batchedIiLi128ELi8E19rocblas_complex_numIdEPKS1_S3_PS1_EviT3_lT4_lT_lT5_lS7_li ; -- Begin function _ZL27rocblas_axpy_kernel_batchedIiLi128ELi8E19rocblas_complex_numIdEPKS1_S3_PS1_EviT3_lT4_lT_lT5_lS7_li
	.p2align	8
	.type	_ZL27rocblas_axpy_kernel_batchedIiLi128ELi8E19rocblas_complex_numIdEPKS1_S3_PS1_EviT3_lT4_lT_lT5_lS7_li,@function
_ZL27rocblas_axpy_kernel_batchedIiLi128ELi8E19rocblas_complex_numIdEPKS1_S3_PS1_EviT3_lT4_lT_lT5_lS7_li: ; @_ZL27rocblas_axpy_kernel_batchedIiLi128ELi8E19rocblas_complex_numIdEPKS1_S3_PS1_EviT3_lT4_lT_lT5_lS7_li
; %bb.0:
	s_load_b32 s4, s[0:1], 0x0
	s_bfe_u32 s2, ttmp6, 0x4000c
	s_and_b32 s3, ttmp6, 15
	s_add_co_i32 s5, s2, 1
	s_getreg_b32 s2, hwreg(HW_REG_IB_STS2, 6, 4)
	s_mul_i32 s5, ttmp9, s5
	v_and_b32_e32 v1, 0x3ff, v0
	s_add_co_i32 s3, s3, s5
	v_mov_b32_e32 v3, 0
	s_wait_kmcnt 0x0
	s_ashr_i32 s5, s4, 31
	s_cmp_eq_u32 s2, 0
	s_cselect_b32 s3, ttmp9, s3
	s_delay_alu instid0(SALU_CYCLE_1) | instskip(SKIP_1) | instid1(VALU_DEP_1)
	v_lshl_add_u32 v2, s3, 7, v1
	s_mov_b32 s3, exec_lo
	v_cmpx_gt_i64_e64 s[4:5], v[2:3]
	s_cbranch_execz .LBB54_15
; %bb.1:
	s_load_b32 s16, s[0:1], 0x58
	s_bfe_u32 s3, ttmp6, 0x40014
	v_lshrrev_b32_e32 v0, 8, v0
	s_lshr_b32 s4, ttmp7, 16
	s_add_co_i32 s3, s3, 1
	s_bfe_u32 s5, ttmp6, 0x40008
	s_mul_i32 s3, s4, s3
	v_and_b32_e32 v0, 0xffc, v0
	s_add_co_i32 s5, s5, s3
	s_cmp_eq_u32 s2, 0
	s_cselect_b32 s2, s4, s5
	s_delay_alu instid0(VALU_DEP_1) | instid1(SALU_CYCLE_1)
	v_lshl_add_u32 v4, s2, 5, v0
	s_wait_kmcnt 0x0
	s_delay_alu instid0(VALU_DEP_1)
	v_cmp_gt_u32_e32 vcc_lo, s16, v4
	s_and_b32 exec_lo, exec_lo, vcc_lo
	s_cbranch_execz .LBB54_15
; %bb.2:
	s_clause 0x4
	s_load_b32 s4, s[0:1], 0x28
	s_load_b96 s[20:22], s[0:1], 0x40
	s_load_b128 s[12:15], s[0:1], 0x30
	s_load_b64 s[2:3], s[0:1], 0x50
	s_load_b32 s17, s[0:1], 0x68
	v_mov_b32_e32 v5, 0
	s_wait_kmcnt 0x0
	s_ashr_i32 s5, s4, 31
	s_ashr_i32 s7, s22, 31
	s_mov_b32 s6, s22
	v_mul_u64_e32 v[0:1], s[4:5], v[2:3]
	v_mul_u64_e32 v[2:3], s[6:7], v[2:3]
	s_load_b256 s[4:11], s[0:1], 0x8
	s_wait_kmcnt 0x0
	s_lshl_b64 s[0:1], s[10:11], 4
	s_lshl_b64 s[10:11], s[20:21], 4
	s_add_nc_u64 s[0:1], s[8:9], s[0:1]
	s_add_nc_u64 s[8:9], s[14:15], s[10:11]
	s_delay_alu instid0(VALU_DEP_2) | instskip(NEXT) | instid1(VALU_DEP_2)
	v_lshl_add_u64 v[6:7], v[0:1], 4, s[0:1]
	v_lshl_add_u64 v[8:9], v[2:3], 4, s[8:9]
	s_lshl_b32 s1, s17, 5
	s_mov_b32 s8, 0
	s_branch .LBB54_4
.LBB54_3:                               ;   in Loop: Header=BB54_4 Depth=1
	s_wait_xcnt 0x0
	s_or_b32 exec_lo, exec_lo, s9
	v_add_nc_u32_e32 v4, s1, v4
	s_delay_alu instid0(VALU_DEP_1) | instskip(SKIP_1) | instid1(SALU_CYCLE_1)
	v_cmp_le_u32_e32 vcc_lo, s16, v4
	s_or_b32 s8, vcc_lo, s8
	s_and_not1_b32 exec_lo, exec_lo, s8
	s_cbranch_execz .LBB54_15
.LBB54_4:                               ; =>This Inner Loop Header: Depth=1
	v_mul_u64_e32 v[0:1], s[6:7], v[4:5]
	s_delay_alu instid0(VALU_DEP_1)
	v_lshl_add_u64 v[0:1], v[0:1], 4, s[4:5]
	global_load_b128 v[0:3], v[0:1], off
	s_wait_loadcnt 0x0
	v_cmp_neq_f64_e32 vcc_lo, 0, v[0:1]
	v_cmp_neq_f64_e64 s0, 0, v[2:3]
	s_or_b32 s9, vcc_lo, s0
	s_wait_xcnt 0x0
	s_and_saveexec_b32 s0, s9
	s_cbranch_execz .LBB54_6
; %bb.5:                                ;   in Loop: Header=BB54_4 Depth=1
	v_mul_u64_e32 v[10:11], s[12:13], v[4:5]
	v_mul_u64_e32 v[14:15], s[2:3], v[4:5]
	s_delay_alu instid0(VALU_DEP_2) | instskip(NEXT) | instid1(VALU_DEP_2)
	v_lshl_add_u64 v[10:11], v[10:11], 4, v[6:7]
	v_lshl_add_u64 v[18:19], v[14:15], 4, v[8:9]
	global_load_b128 v[10:13], v[10:11], off
	global_load_b128 v[14:17], v[18:19], off
	s_wait_loadcnt 0x1
	v_mul_f64_e32 v[20:21], v[2:3], v[12:13]
	v_mul_f64_e32 v[12:13], v[0:1], v[12:13]
	s_delay_alu instid0(VALU_DEP_2) | instskip(NEXT) | instid1(VALU_DEP_2)
	v_fma_f64 v[0:1], v[0:1], v[10:11], -v[20:21]
	v_fmac_f64_e32 v[12:13], v[2:3], v[10:11]
	s_wait_loadcnt 0x0
	s_delay_alu instid0(VALU_DEP_2) | instskip(NEXT) | instid1(VALU_DEP_2)
	v_add_f64_e32 v[0:1], v[14:15], v[0:1]
	v_add_f64_e32 v[2:3], v[12:13], v[16:17]
	global_store_b128 v[18:19], v[0:3], off
.LBB54_6:                               ;   in Loop: Header=BB54_4 Depth=1
	s_wait_xcnt 0x0
	s_or_b32 exec_lo, exec_lo, s0
	v_add_nc_u32_e32 v10, 1, v4
	s_mov_b32 s9, exec_lo
	s_delay_alu instid0(VALU_DEP_1)
	v_cmpx_gt_u32_e64 s16, v10
	s_cbranch_execz .LBB54_9
; %bb.7:                                ;   in Loop: Header=BB54_4 Depth=1
	v_mov_b32_e32 v11, v5
	s_delay_alu instid0(VALU_DEP_1) | instskip(NEXT) | instid1(VALU_DEP_1)
	v_mul_u64_e32 v[0:1], s[6:7], v[10:11]
	v_lshl_add_u64 v[0:1], v[0:1], 4, s[4:5]
	global_load_b128 v[0:3], v[0:1], off
	s_wait_loadcnt 0x0
	v_cmp_neq_f64_e32 vcc_lo, 0, v[0:1]
	v_cmp_neq_f64_e64 s0, 0, v[2:3]
	s_or_b32 s0, vcc_lo, s0
	s_wait_xcnt 0x0
	s_and_b32 exec_lo, exec_lo, s0
	s_cbranch_execz .LBB54_9
; %bb.8:                                ;   in Loop: Header=BB54_4 Depth=1
	v_mul_u64_e32 v[12:13], s[12:13], v[10:11]
	v_mul_u64_e32 v[10:11], s[2:3], v[10:11]
	s_delay_alu instid0(VALU_DEP_2) | instskip(NEXT) | instid1(VALU_DEP_2)
	v_lshl_add_u64 v[12:13], v[12:13], 4, v[6:7]
	v_lshl_add_u64 v[10:11], v[10:11], 4, v[8:9]
	global_load_b128 v[12:15], v[12:13], off
	global_load_b128 v[16:19], v[10:11], off
	s_wait_loadcnt 0x1
	v_mul_f64_e32 v[20:21], v[2:3], v[14:15]
	v_mul_f64_e32 v[14:15], v[0:1], v[14:15]
	s_delay_alu instid0(VALU_DEP_2) | instskip(NEXT) | instid1(VALU_DEP_2)
	v_fma_f64 v[0:1], v[0:1], v[12:13], -v[20:21]
	v_fmac_f64_e32 v[14:15], v[2:3], v[12:13]
	s_wait_loadcnt 0x0
	s_delay_alu instid0(VALU_DEP_2) | instskip(NEXT) | instid1(VALU_DEP_2)
	v_add_f64_e32 v[0:1], v[16:17], v[0:1]
	v_add_f64_e32 v[2:3], v[14:15], v[18:19]
	global_store_b128 v[10:11], v[0:3], off
.LBB54_9:                               ;   in Loop: Header=BB54_4 Depth=1
	s_wait_xcnt 0x0
	s_or_b32 exec_lo, exec_lo, s9
	v_add_nc_u32_e32 v10, 2, v4
	s_mov_b32 s9, exec_lo
	s_delay_alu instid0(VALU_DEP_1)
	v_cmpx_gt_u32_e64 s16, v10
	s_cbranch_execz .LBB54_12
; %bb.10:                               ;   in Loop: Header=BB54_4 Depth=1
	v_mov_b32_e32 v11, v5
	s_delay_alu instid0(VALU_DEP_1) | instskip(NEXT) | instid1(VALU_DEP_1)
	v_mul_u64_e32 v[0:1], s[6:7], v[10:11]
	v_lshl_add_u64 v[0:1], v[0:1], 4, s[4:5]
	global_load_b128 v[0:3], v[0:1], off
	s_wait_loadcnt 0x0
	v_cmp_neq_f64_e32 vcc_lo, 0, v[0:1]
	v_cmp_neq_f64_e64 s0, 0, v[2:3]
	s_or_b32 s0, vcc_lo, s0
	s_wait_xcnt 0x0
	s_and_b32 exec_lo, exec_lo, s0
	s_cbranch_execz .LBB54_12
; %bb.11:                               ;   in Loop: Header=BB54_4 Depth=1
	v_mul_u64_e32 v[12:13], s[12:13], v[10:11]
	v_mul_u64_e32 v[10:11], s[2:3], v[10:11]
	s_delay_alu instid0(VALU_DEP_2) | instskip(NEXT) | instid1(VALU_DEP_2)
	v_lshl_add_u64 v[12:13], v[12:13], 4, v[6:7]
	v_lshl_add_u64 v[10:11], v[10:11], 4, v[8:9]
	global_load_b128 v[12:15], v[12:13], off
	global_load_b128 v[16:19], v[10:11], off
	s_wait_loadcnt 0x1
	v_mul_f64_e32 v[20:21], v[2:3], v[14:15]
	v_mul_f64_e32 v[14:15], v[0:1], v[14:15]
	s_delay_alu instid0(VALU_DEP_2) | instskip(NEXT) | instid1(VALU_DEP_2)
	v_fma_f64 v[0:1], v[0:1], v[12:13], -v[20:21]
	v_fmac_f64_e32 v[14:15], v[2:3], v[12:13]
	s_wait_loadcnt 0x0
	s_delay_alu instid0(VALU_DEP_2) | instskip(NEXT) | instid1(VALU_DEP_2)
	v_add_f64_e32 v[0:1], v[16:17], v[0:1]
	v_add_f64_e32 v[2:3], v[14:15], v[18:19]
	global_store_b128 v[10:11], v[0:3], off
.LBB54_12:                              ;   in Loop: Header=BB54_4 Depth=1
	s_wait_xcnt 0x0
	s_or_b32 exec_lo, exec_lo, s9
	v_add_nc_u32_e32 v10, 3, v4
	s_mov_b32 s9, exec_lo
	s_delay_alu instid0(VALU_DEP_1)
	v_cmpx_gt_u32_e64 s16, v10
	s_cbranch_execz .LBB54_3
; %bb.13:                               ;   in Loop: Header=BB54_4 Depth=1
	v_mov_b32_e32 v11, v5
	s_delay_alu instid0(VALU_DEP_1) | instskip(NEXT) | instid1(VALU_DEP_1)
	v_mul_u64_e32 v[0:1], s[6:7], v[10:11]
	v_lshl_add_u64 v[0:1], v[0:1], 4, s[4:5]
	global_load_b128 v[0:3], v[0:1], off
	s_wait_loadcnt 0x0
	v_cmp_neq_f64_e32 vcc_lo, 0, v[0:1]
	v_cmp_neq_f64_e64 s0, 0, v[2:3]
	s_or_b32 s0, vcc_lo, s0
	s_wait_xcnt 0x0
	s_and_b32 exec_lo, exec_lo, s0
	s_cbranch_execz .LBB54_3
; %bb.14:                               ;   in Loop: Header=BB54_4 Depth=1
	v_mul_u64_e32 v[12:13], s[12:13], v[10:11]
	v_mul_u64_e32 v[10:11], s[2:3], v[10:11]
	s_delay_alu instid0(VALU_DEP_2) | instskip(NEXT) | instid1(VALU_DEP_2)
	v_lshl_add_u64 v[12:13], v[12:13], 4, v[6:7]
	v_lshl_add_u64 v[10:11], v[10:11], 4, v[8:9]
	global_load_b128 v[12:15], v[12:13], off
	global_load_b128 v[16:19], v[10:11], off
	s_wait_loadcnt 0x1
	v_mul_f64_e32 v[20:21], v[2:3], v[14:15]
	v_mul_f64_e32 v[14:15], v[0:1], v[14:15]
	s_delay_alu instid0(VALU_DEP_2) | instskip(NEXT) | instid1(VALU_DEP_2)
	v_fma_f64 v[0:1], v[0:1], v[12:13], -v[20:21]
	v_fmac_f64_e32 v[14:15], v[2:3], v[12:13]
	s_wait_loadcnt 0x0
	s_delay_alu instid0(VALU_DEP_2) | instskip(NEXT) | instid1(VALU_DEP_2)
	v_add_f64_e32 v[0:1], v[16:17], v[0:1]
	v_add_f64_e32 v[2:3], v[14:15], v[18:19]
	global_store_b128 v[10:11], v[0:3], off
	s_branch .LBB54_3
.LBB54_15:
	s_endpgm
	.section	.rodata,"a",@progbits
	.p2align	6, 0x0
	.amdhsa_kernel _ZL27rocblas_axpy_kernel_batchedIiLi128ELi8E19rocblas_complex_numIdEPKS1_S3_PS1_EviT3_lT4_lT_lT5_lS7_li
		.amdhsa_group_segment_fixed_size 0
		.amdhsa_private_segment_fixed_size 0
		.amdhsa_kernarg_size 352
		.amdhsa_user_sgpr_count 2
		.amdhsa_user_sgpr_dispatch_ptr 0
		.amdhsa_user_sgpr_queue_ptr 0
		.amdhsa_user_sgpr_kernarg_segment_ptr 1
		.amdhsa_user_sgpr_dispatch_id 0
		.amdhsa_user_sgpr_kernarg_preload_length 0
		.amdhsa_user_sgpr_kernarg_preload_offset 0
		.amdhsa_user_sgpr_private_segment_size 0
		.amdhsa_wavefront_size32 1
		.amdhsa_uses_dynamic_stack 0
		.amdhsa_enable_private_segment 0
		.amdhsa_system_sgpr_workgroup_id_x 1
		.amdhsa_system_sgpr_workgroup_id_y 0
		.amdhsa_system_sgpr_workgroup_id_z 1
		.amdhsa_system_sgpr_workgroup_info 0
		.amdhsa_system_vgpr_workitem_id 1
		.amdhsa_next_free_vgpr 22
		.amdhsa_next_free_sgpr 23
		.amdhsa_named_barrier_count 0
		.amdhsa_reserve_vcc 1
		.amdhsa_float_round_mode_32 0
		.amdhsa_float_round_mode_16_64 0
		.amdhsa_float_denorm_mode_32 3
		.amdhsa_float_denorm_mode_16_64 3
		.amdhsa_fp16_overflow 0
		.amdhsa_memory_ordered 1
		.amdhsa_forward_progress 1
		.amdhsa_inst_pref_size 9
		.amdhsa_round_robin_scheduling 0
		.amdhsa_exception_fp_ieee_invalid_op 0
		.amdhsa_exception_fp_denorm_src 0
		.amdhsa_exception_fp_ieee_div_zero 0
		.amdhsa_exception_fp_ieee_overflow 0
		.amdhsa_exception_fp_ieee_underflow 0
		.amdhsa_exception_fp_ieee_inexact 0
		.amdhsa_exception_int_div_zero 0
	.end_amdhsa_kernel
	.section	.text._ZL27rocblas_axpy_kernel_batchedIiLi128ELi8E19rocblas_complex_numIdEPKS1_S3_PS1_EviT3_lT4_lT_lT5_lS7_li,"axG",@progbits,_ZL27rocblas_axpy_kernel_batchedIiLi128ELi8E19rocblas_complex_numIdEPKS1_S3_PS1_EviT3_lT4_lT_lT5_lS7_li,comdat
.Lfunc_end54:
	.size	_ZL27rocblas_axpy_kernel_batchedIiLi128ELi8E19rocblas_complex_numIdEPKS1_S3_PS1_EviT3_lT4_lT_lT5_lS7_li, .Lfunc_end54-_ZL27rocblas_axpy_kernel_batchedIiLi128ELi8E19rocblas_complex_numIdEPKS1_S3_PS1_EviT3_lT4_lT_lT5_lS7_li
                                        ; -- End function
	.set _ZL27rocblas_axpy_kernel_batchedIiLi128ELi8E19rocblas_complex_numIdEPKS1_S3_PS1_EviT3_lT4_lT_lT5_lS7_li.num_vgpr, 22
	.set _ZL27rocblas_axpy_kernel_batchedIiLi128ELi8E19rocblas_complex_numIdEPKS1_S3_PS1_EviT3_lT4_lT_lT5_lS7_li.num_agpr, 0
	.set _ZL27rocblas_axpy_kernel_batchedIiLi128ELi8E19rocblas_complex_numIdEPKS1_S3_PS1_EviT3_lT4_lT_lT5_lS7_li.numbered_sgpr, 23
	.set _ZL27rocblas_axpy_kernel_batchedIiLi128ELi8E19rocblas_complex_numIdEPKS1_S3_PS1_EviT3_lT4_lT_lT5_lS7_li.num_named_barrier, 0
	.set _ZL27rocblas_axpy_kernel_batchedIiLi128ELi8E19rocblas_complex_numIdEPKS1_S3_PS1_EviT3_lT4_lT_lT5_lS7_li.private_seg_size, 0
	.set _ZL27rocblas_axpy_kernel_batchedIiLi128ELi8E19rocblas_complex_numIdEPKS1_S3_PS1_EviT3_lT4_lT_lT5_lS7_li.uses_vcc, 1
	.set _ZL27rocblas_axpy_kernel_batchedIiLi128ELi8E19rocblas_complex_numIdEPKS1_S3_PS1_EviT3_lT4_lT_lT5_lS7_li.uses_flat_scratch, 0
	.set _ZL27rocblas_axpy_kernel_batchedIiLi128ELi8E19rocblas_complex_numIdEPKS1_S3_PS1_EviT3_lT4_lT_lT5_lS7_li.has_dyn_sized_stack, 0
	.set _ZL27rocblas_axpy_kernel_batchedIiLi128ELi8E19rocblas_complex_numIdEPKS1_S3_PS1_EviT3_lT4_lT_lT5_lS7_li.has_recursion, 0
	.set _ZL27rocblas_axpy_kernel_batchedIiLi128ELi8E19rocblas_complex_numIdEPKS1_S3_PS1_EviT3_lT4_lT_lT5_lS7_li.has_indirect_call, 0
	.section	.AMDGPU.csdata,"",@progbits
; Kernel info:
; codeLenInByte = 1136
; TotalNumSgprs: 25
; NumVgprs: 22
; ScratchSize: 0
; MemoryBound: 0
; FloatMode: 240
; IeeeMode: 1
; LDSByteSize: 0 bytes/workgroup (compile time only)
; SGPRBlocks: 0
; VGPRBlocks: 1
; NumSGPRsForWavesPerEU: 25
; NumVGPRsForWavesPerEU: 22
; NamedBarCnt: 0
; Occupancy: 16
; WaveLimiterHint : 0
; COMPUTE_PGM_RSRC2:SCRATCH_EN: 0
; COMPUTE_PGM_RSRC2:USER_SGPR: 2
; COMPUTE_PGM_RSRC2:TRAP_HANDLER: 0
; COMPUTE_PGM_RSRC2:TGID_X_EN: 1
; COMPUTE_PGM_RSRC2:TGID_Y_EN: 0
; COMPUTE_PGM_RSRC2:TGID_Z_EN: 1
; COMPUTE_PGM_RSRC2:TIDIG_COMP_CNT: 1
	.section	.text._ZL27rocblas_axpy_kernel_batchedIiLi128ELi8E19rocblas_complex_numIdES1_PKS1_PS1_EviT3_lT4_lT_lT5_lS7_li,"axG",@progbits,_ZL27rocblas_axpy_kernel_batchedIiLi128ELi8E19rocblas_complex_numIdES1_PKS1_PS1_EviT3_lT4_lT_lT5_lS7_li,comdat
	.globl	_ZL27rocblas_axpy_kernel_batchedIiLi128ELi8E19rocblas_complex_numIdES1_PKS1_PS1_EviT3_lT4_lT_lT5_lS7_li ; -- Begin function _ZL27rocblas_axpy_kernel_batchedIiLi128ELi8E19rocblas_complex_numIdES1_PKS1_PS1_EviT3_lT4_lT_lT5_lS7_li
	.p2align	8
	.type	_ZL27rocblas_axpy_kernel_batchedIiLi128ELi8E19rocblas_complex_numIdES1_PKS1_PS1_EviT3_lT4_lT_lT5_lS7_li,@function
_ZL27rocblas_axpy_kernel_batchedIiLi128ELi8E19rocblas_complex_numIdES1_PKS1_PS1_EviT3_lT4_lT_lT5_lS7_li: ; @_ZL27rocblas_axpy_kernel_batchedIiLi128ELi8E19rocblas_complex_numIdES1_PKS1_PS1_EviT3_lT4_lT_lT5_lS7_li
; %bb.0:
	s_load_b32 s4, s[0:1], 0x0
	s_bfe_u32 s2, ttmp6, 0x4000c
	s_and_b32 s3, ttmp6, 15
	s_add_co_i32 s5, s2, 1
	s_getreg_b32 s2, hwreg(HW_REG_IB_STS2, 6, 4)
	s_mul_i32 s5, ttmp9, s5
	v_and_b32_e32 v1, 0x3ff, v0
	s_add_co_i32 s3, s3, s5
	v_mov_b32_e32 v3, 0
	s_wait_kmcnt 0x0
	s_ashr_i32 s5, s4, 31
	s_cmp_eq_u32 s2, 0
	s_cselect_b32 s3, ttmp9, s3
	s_delay_alu instid0(SALU_CYCLE_1) | instskip(SKIP_1) | instid1(VALU_DEP_1)
	v_lshl_add_u32 v2, s3, 7, v1
	s_mov_b32 s3, exec_lo
	v_cmpx_gt_i64_e64 s[4:5], v[2:3]
	s_cbranch_execz .LBB55_12
; %bb.1:
	s_load_b32 s12, s[0:1], 0x60
	s_bfe_u32 s3, ttmp6, 0x40014
	v_lshrrev_b32_e32 v0, 8, v0
	s_lshr_b32 s4, ttmp7, 16
	s_add_co_i32 s3, s3, 1
	s_bfe_u32 s5, ttmp6, 0x40008
	s_mul_i32 s3, s4, s3
	v_and_b32_e32 v0, 0xffc, v0
	s_add_co_i32 s5, s5, s3
	s_cmp_eq_u32 s2, 0
	s_cselect_b32 s2, s4, s5
	s_delay_alu instid0(VALU_DEP_1) | instid1(SALU_CYCLE_1)
	v_lshl_add_u32 v0, s2, 5, v0
	s_wait_kmcnt 0x0
	s_delay_alu instid0(VALU_DEP_1)
	v_cmp_gt_u32_e32 vcc_lo, s12, v0
	s_and_b32 exec_lo, exec_lo, vcc_lo
	s_cbranch_execz .LBB55_12
; %bb.2:
	s_clause 0x6
	s_load_b32 s14, s[0:1], 0x30
	s_load_b96 s[20:22], s[0:1], 0x48
	s_load_b128 s[4:7], s[0:1], 0x8
	s_load_b128 s[16:19], s[0:1], 0x20
	s_load_b128 s[8:11], s[0:1], 0x38
	s_load_b64 s[2:3], s[0:1], 0x58
	s_load_b32 s13, s[0:1], 0x70
	v_mov_b32_e32 v1, 0
	s_wait_kmcnt 0x0
	s_ashr_i32 s15, s14, 31
	s_ashr_i32 s1, s22, 31
	s_mov_b32 s0, s22
	v_mul_u64_e32 v[4:5], s[14:15], v[2:3]
	v_mul_u64_e32 v[6:7], s[0:1], v[2:3]
	v_cmp_eq_f64_e64 s22, s[4:5], 0
	v_cmp_eq_f64_e64 s23, s[6:7], 0
	s_lshl_b64 s[0:1], s[18:19], 4
	s_lshl_b64 s[14:15], s[20:21], 4
	s_add_nc_u64 s[0:1], s[16:17], s[0:1]
	s_add_nc_u64 s[10:11], s[10:11], s[14:15]
	v_lshl_add_u64 v[2:3], v[4:5], 4, s[0:1]
	v_lshl_add_u64 v[4:5], v[6:7], 4, s[10:11]
	s_lshl_b32 s1, s13, 5
	s_and_b32 s14, s22, s23
	s_mov_b32 s10, 0
	s_xor_b32 s0, s14, -1
	s_branch .LBB55_4
.LBB55_3:                               ;   in Loop: Header=BB55_4 Depth=1
	s_wait_xcnt 0x0
	s_or_b32 exec_lo, exec_lo, s11
	v_add_nc_u32_e32 v0, s1, v0
	s_delay_alu instid0(VALU_DEP_1) | instskip(SKIP_1) | instid1(SALU_CYCLE_1)
	v_cmp_le_u32_e32 vcc_lo, s12, v0
	s_or_b32 s10, vcc_lo, s10
	s_and_not1_b32 exec_lo, exec_lo, s10
	s_cbranch_execz .LBB55_12
.LBB55_4:                               ; =>This Inner Loop Header: Depth=1
	s_and_not1_b32 vcc_lo, exec_lo, s0
	s_cbranch_vccnz .LBB55_6
; %bb.5:                                ;   in Loop: Header=BB55_4 Depth=1
	v_mul_u64_e32 v[6:7], s[8:9], v[0:1]
	v_mul_u64_e32 v[10:11], s[2:3], v[0:1]
	s_delay_alu instid0(VALU_DEP_2) | instskip(NEXT) | instid1(VALU_DEP_2)
	v_lshl_add_u64 v[6:7], v[6:7], 4, v[2:3]
	v_lshl_add_u64 v[14:15], v[10:11], 4, v[4:5]
	global_load_b128 v[6:9], v[6:7], off
	global_load_b128 v[10:13], v[14:15], off
	s_wait_loadcnt 0x1
	v_mul_f64_e32 v[16:17], s[6:7], v[8:9]
	v_mul_f64_e32 v[8:9], s[4:5], v[8:9]
	s_delay_alu instid0(VALU_DEP_2) | instskip(NEXT) | instid1(VALU_DEP_2)
	v_fma_f64 v[16:17], s[4:5], v[6:7], -v[16:17]
	v_fmac_f64_e32 v[8:9], s[6:7], v[6:7]
	s_wait_loadcnt 0x0
	s_wait_xcnt 0x1
	s_delay_alu instid0(VALU_DEP_2) | instskip(NEXT) | instid1(VALU_DEP_2)
	v_add_f64_e32 v[6:7], v[10:11], v[16:17]
	v_add_f64_e32 v[8:9], v[8:9], v[12:13]
	global_store_b128 v[14:15], v[6:9], off
.LBB55_6:                               ;   in Loop: Header=BB55_4 Depth=1
	s_wait_xcnt 0x0
	v_add_nc_u32_e32 v6, 1, v0
	s_delay_alu instid0(VALU_DEP_1) | instskip(SKIP_1) | instid1(SALU_CYCLE_1)
	v_cmp_gt_u32_e32 vcc_lo, s12, v6
	s_and_b32 s13, vcc_lo, s0
	s_and_saveexec_b32 s11, s13
	s_cbranch_execz .LBB55_8
; %bb.7:                                ;   in Loop: Header=BB55_4 Depth=1
	v_mov_b32_e32 v7, v1
	s_delay_alu instid0(VALU_DEP_1) | instskip(SKIP_1) | instid1(VALU_DEP_2)
	v_mul_u64_e32 v[8:9], s[8:9], v[6:7]
	v_mul_u64_e32 v[6:7], s[2:3], v[6:7]
	v_lshl_add_u64 v[8:9], v[8:9], 4, v[2:3]
	s_delay_alu instid0(VALU_DEP_2)
	v_lshl_add_u64 v[16:17], v[6:7], 4, v[4:5]
	global_load_b128 v[8:11], v[8:9], off
	global_load_b128 v[12:15], v[16:17], off
	s_wait_loadcnt 0x1
	v_mul_f64_e32 v[6:7], s[6:7], v[10:11]
	v_mul_f64_e32 v[10:11], s[4:5], v[10:11]
	s_delay_alu instid0(VALU_DEP_2) | instskip(NEXT) | instid1(VALU_DEP_2)
	v_fma_f64 v[6:7], s[4:5], v[8:9], -v[6:7]
	v_fmac_f64_e32 v[10:11], s[6:7], v[8:9]
	s_wait_loadcnt 0x0
	s_delay_alu instid0(VALU_DEP_2) | instskip(SKIP_1) | instid1(VALU_DEP_2)
	v_add_f64_e32 v[6:7], v[12:13], v[6:7]
	s_wait_xcnt 0x1
	v_add_f64_e32 v[8:9], v[10:11], v[14:15]
	global_store_b128 v[16:17], v[6:9], off
.LBB55_8:                               ;   in Loop: Header=BB55_4 Depth=1
	s_wait_xcnt 0x0
	s_or_b32 exec_lo, exec_lo, s11
	v_add_nc_u32_e32 v6, 2, v0
	s_delay_alu instid0(VALU_DEP_1) | instskip(SKIP_1) | instid1(SALU_CYCLE_1)
	v_cmp_gt_u32_e32 vcc_lo, s12, v6
	s_and_b32 s13, vcc_lo, s0
	s_and_saveexec_b32 s11, s13
	s_cbranch_execz .LBB55_10
; %bb.9:                                ;   in Loop: Header=BB55_4 Depth=1
	v_mov_b32_e32 v7, v1
	s_delay_alu instid0(VALU_DEP_1) | instskip(SKIP_1) | instid1(VALU_DEP_2)
	v_mul_u64_e32 v[8:9], s[8:9], v[6:7]
	v_mul_u64_e32 v[6:7], s[2:3], v[6:7]
	v_lshl_add_u64 v[8:9], v[8:9], 4, v[2:3]
	s_delay_alu instid0(VALU_DEP_2)
	v_lshl_add_u64 v[16:17], v[6:7], 4, v[4:5]
	global_load_b128 v[8:11], v[8:9], off
	global_load_b128 v[12:15], v[16:17], off
	s_wait_loadcnt 0x1
	v_mul_f64_e32 v[6:7], s[6:7], v[10:11]
	v_mul_f64_e32 v[10:11], s[4:5], v[10:11]
	s_delay_alu instid0(VALU_DEP_2) | instskip(NEXT) | instid1(VALU_DEP_2)
	v_fma_f64 v[6:7], s[4:5], v[8:9], -v[6:7]
	v_fmac_f64_e32 v[10:11], s[6:7], v[8:9]
	s_wait_loadcnt 0x0
	s_delay_alu instid0(VALU_DEP_2) | instskip(SKIP_1) | instid1(VALU_DEP_2)
	v_add_f64_e32 v[6:7], v[12:13], v[6:7]
	s_wait_xcnt 0x1
	v_add_f64_e32 v[8:9], v[10:11], v[14:15]
	global_store_b128 v[16:17], v[6:9], off
.LBB55_10:                              ;   in Loop: Header=BB55_4 Depth=1
	s_wait_xcnt 0x0
	s_or_b32 exec_lo, exec_lo, s11
	v_add_nc_u32_e32 v6, 3, v0
	s_delay_alu instid0(VALU_DEP_1) | instskip(SKIP_1) | instid1(SALU_CYCLE_1)
	v_cmp_gt_u32_e32 vcc_lo, s12, v6
	s_and_b32 s13, vcc_lo, s0
	s_and_saveexec_b32 s11, s13
	s_cbranch_execz .LBB55_3
; %bb.11:                               ;   in Loop: Header=BB55_4 Depth=1
	v_mov_b32_e32 v7, v1
	s_delay_alu instid0(VALU_DEP_1) | instskip(SKIP_1) | instid1(VALU_DEP_2)
	v_mul_u64_e32 v[8:9], s[8:9], v[6:7]
	v_mul_u64_e32 v[6:7], s[2:3], v[6:7]
	v_lshl_add_u64 v[8:9], v[8:9], 4, v[2:3]
	s_delay_alu instid0(VALU_DEP_2)
	v_lshl_add_u64 v[16:17], v[6:7], 4, v[4:5]
	global_load_b128 v[8:11], v[8:9], off
	global_load_b128 v[12:15], v[16:17], off
	s_wait_loadcnt 0x1
	v_mul_f64_e32 v[6:7], s[6:7], v[10:11]
	v_mul_f64_e32 v[10:11], s[4:5], v[10:11]
	s_delay_alu instid0(VALU_DEP_2) | instskip(NEXT) | instid1(VALU_DEP_2)
	v_fma_f64 v[6:7], s[4:5], v[8:9], -v[6:7]
	v_fmac_f64_e32 v[10:11], s[6:7], v[8:9]
	s_wait_loadcnt 0x0
	s_delay_alu instid0(VALU_DEP_2) | instskip(SKIP_1) | instid1(VALU_DEP_2)
	v_add_f64_e32 v[6:7], v[12:13], v[6:7]
	s_wait_xcnt 0x1
	v_add_f64_e32 v[8:9], v[10:11], v[14:15]
	global_store_b128 v[16:17], v[6:9], off
	s_branch .LBB55_3
.LBB55_12:
	s_endpgm
	.section	.rodata,"a",@progbits
	.p2align	6, 0x0
	.amdhsa_kernel _ZL27rocblas_axpy_kernel_batchedIiLi128ELi8E19rocblas_complex_numIdES1_PKS1_PS1_EviT3_lT4_lT_lT5_lS7_li
		.amdhsa_group_segment_fixed_size 0
		.amdhsa_private_segment_fixed_size 0
		.amdhsa_kernarg_size 360
		.amdhsa_user_sgpr_count 2
		.amdhsa_user_sgpr_dispatch_ptr 0
		.amdhsa_user_sgpr_queue_ptr 0
		.amdhsa_user_sgpr_kernarg_segment_ptr 1
		.amdhsa_user_sgpr_dispatch_id 0
		.amdhsa_user_sgpr_kernarg_preload_length 0
		.amdhsa_user_sgpr_kernarg_preload_offset 0
		.amdhsa_user_sgpr_private_segment_size 0
		.amdhsa_wavefront_size32 1
		.amdhsa_uses_dynamic_stack 0
		.amdhsa_enable_private_segment 0
		.amdhsa_system_sgpr_workgroup_id_x 1
		.amdhsa_system_sgpr_workgroup_id_y 0
		.amdhsa_system_sgpr_workgroup_id_z 1
		.amdhsa_system_sgpr_workgroup_info 0
		.amdhsa_system_vgpr_workitem_id 1
		.amdhsa_next_free_vgpr 18
		.amdhsa_next_free_sgpr 24
		.amdhsa_named_barrier_count 0
		.amdhsa_reserve_vcc 1
		.amdhsa_float_round_mode_32 0
		.amdhsa_float_round_mode_16_64 0
		.amdhsa_float_denorm_mode_32 3
		.amdhsa_float_denorm_mode_16_64 3
		.amdhsa_fp16_overflow 0
		.amdhsa_memory_ordered 1
		.amdhsa_forward_progress 1
		.amdhsa_inst_pref_size 8
		.amdhsa_round_robin_scheduling 0
		.amdhsa_exception_fp_ieee_invalid_op 0
		.amdhsa_exception_fp_denorm_src 0
		.amdhsa_exception_fp_ieee_div_zero 0
		.amdhsa_exception_fp_ieee_overflow 0
		.amdhsa_exception_fp_ieee_underflow 0
		.amdhsa_exception_fp_ieee_inexact 0
		.amdhsa_exception_int_div_zero 0
	.end_amdhsa_kernel
	.section	.text._ZL27rocblas_axpy_kernel_batchedIiLi128ELi8E19rocblas_complex_numIdES1_PKS1_PS1_EviT3_lT4_lT_lT5_lS7_li,"axG",@progbits,_ZL27rocblas_axpy_kernel_batchedIiLi128ELi8E19rocblas_complex_numIdES1_PKS1_PS1_EviT3_lT4_lT_lT5_lS7_li,comdat
.Lfunc_end55:
	.size	_ZL27rocblas_axpy_kernel_batchedIiLi128ELi8E19rocblas_complex_numIdES1_PKS1_PS1_EviT3_lT4_lT_lT5_lS7_li, .Lfunc_end55-_ZL27rocblas_axpy_kernel_batchedIiLi128ELi8E19rocblas_complex_numIdES1_PKS1_PS1_EviT3_lT4_lT_lT5_lS7_li
                                        ; -- End function
	.set _ZL27rocblas_axpy_kernel_batchedIiLi128ELi8E19rocblas_complex_numIdES1_PKS1_PS1_EviT3_lT4_lT_lT5_lS7_li.num_vgpr, 18
	.set _ZL27rocblas_axpy_kernel_batchedIiLi128ELi8E19rocblas_complex_numIdES1_PKS1_PS1_EviT3_lT4_lT_lT5_lS7_li.num_agpr, 0
	.set _ZL27rocblas_axpy_kernel_batchedIiLi128ELi8E19rocblas_complex_numIdES1_PKS1_PS1_EviT3_lT4_lT_lT5_lS7_li.numbered_sgpr, 24
	.set _ZL27rocblas_axpy_kernel_batchedIiLi128ELi8E19rocblas_complex_numIdES1_PKS1_PS1_EviT3_lT4_lT_lT5_lS7_li.num_named_barrier, 0
	.set _ZL27rocblas_axpy_kernel_batchedIiLi128ELi8E19rocblas_complex_numIdES1_PKS1_PS1_EviT3_lT4_lT_lT5_lS7_li.private_seg_size, 0
	.set _ZL27rocblas_axpy_kernel_batchedIiLi128ELi8E19rocblas_complex_numIdES1_PKS1_PS1_EviT3_lT4_lT_lT5_lS7_li.uses_vcc, 1
	.set _ZL27rocblas_axpy_kernel_batchedIiLi128ELi8E19rocblas_complex_numIdES1_PKS1_PS1_EviT3_lT4_lT_lT5_lS7_li.uses_flat_scratch, 0
	.set _ZL27rocblas_axpy_kernel_batchedIiLi128ELi8E19rocblas_complex_numIdES1_PKS1_PS1_EviT3_lT4_lT_lT5_lS7_li.has_dyn_sized_stack, 0
	.set _ZL27rocblas_axpy_kernel_batchedIiLi128ELi8E19rocblas_complex_numIdES1_PKS1_PS1_EviT3_lT4_lT_lT5_lS7_li.has_recursion, 0
	.set _ZL27rocblas_axpy_kernel_batchedIiLi128ELi8E19rocblas_complex_numIdES1_PKS1_PS1_EviT3_lT4_lT_lT5_lS7_li.has_indirect_call, 0
	.section	.AMDGPU.csdata,"",@progbits
; Kernel info:
; codeLenInByte = 952
; TotalNumSgprs: 26
; NumVgprs: 18
; ScratchSize: 0
; MemoryBound: 0
; FloatMode: 240
; IeeeMode: 1
; LDSByteSize: 0 bytes/workgroup (compile time only)
; SGPRBlocks: 0
; VGPRBlocks: 1
; NumSGPRsForWavesPerEU: 26
; NumVGPRsForWavesPerEU: 18
; NamedBarCnt: 0
; Occupancy: 16
; WaveLimiterHint : 0
; COMPUTE_PGM_RSRC2:SCRATCH_EN: 0
; COMPUTE_PGM_RSRC2:USER_SGPR: 2
; COMPUTE_PGM_RSRC2:TRAP_HANDLER: 0
; COMPUTE_PGM_RSRC2:TGID_X_EN: 1
; COMPUTE_PGM_RSRC2:TGID_Y_EN: 0
; COMPUTE_PGM_RSRC2:TGID_Z_EN: 1
; COMPUTE_PGM_RSRC2:TIDIG_COMP_CNT: 1
	.section	.text._ZL19rocblas_axpy_kernelIiLi256E19rocblas_complex_numIdEPKS1_S3_PS1_EviT2_lT3_lT_lT4_lS7_li,"axG",@progbits,_ZL19rocblas_axpy_kernelIiLi256E19rocblas_complex_numIdEPKS1_S3_PS1_EviT2_lT3_lT_lT4_lS7_li,comdat
	.globl	_ZL19rocblas_axpy_kernelIiLi256E19rocblas_complex_numIdEPKS1_S3_PS1_EviT2_lT3_lT_lT4_lS7_li ; -- Begin function _ZL19rocblas_axpy_kernelIiLi256E19rocblas_complex_numIdEPKS1_S3_PS1_EviT2_lT3_lT_lT4_lS7_li
	.p2align	8
	.type	_ZL19rocblas_axpy_kernelIiLi256E19rocblas_complex_numIdEPKS1_S3_PS1_EviT2_lT3_lT_lT4_lS7_li,@function
_ZL19rocblas_axpy_kernelIiLi256E19rocblas_complex_numIdEPKS1_S3_PS1_EviT2_lT3_lT_lT4_lS7_li: ; @_ZL19rocblas_axpy_kernelIiLi256E19rocblas_complex_numIdEPKS1_S3_PS1_EviT2_lT3_lT_lT4_lS7_li
; %bb.0:
	s_load_b32 s20, s[0:1], 0x58
	s_bfe_u32 s2, ttmp6, 0x40014
	s_lshr_b32 s3, ttmp7, 16
	s_add_co_i32 s2, s2, 1
	s_bfe_u32 s5, ttmp6, 0x40008
	s_mul_i32 s4, s3, s2
	s_getreg_b32 s2, hwreg(HW_REG_IB_STS2, 6, 4)
	s_add_co_i32 s5, s5, s4
	s_cmp_eq_u32 s2, 0
	s_mov_b32 s17, 0
	s_cselect_b32 s16, s3, s5
	s_wait_kmcnt 0x0
	s_cmp_ge_u32 s16, s20
	s_cbranch_scc1 .LBB56_5
; %bb.1:
	s_clause 0x3
	s_load_b32 s22, s[0:1], 0x0
	s_load_b32 s24, s[0:1], 0x28
	s_load_b96 s[12:14], s[0:1], 0x40
	s_load_b256 s[4:11], s[0:1], 0x8
	s_bfe_u32 s3, ttmp6, 0x4000c
	s_and_b32 s15, ttmp6, 15
	s_add_co_i32 s3, s3, 1
	v_mov_b32_e32 v1, 0
	s_mul_i32 s3, ttmp9, s3
	s_load_b64 s[18:19], s[0:1], 0x50
	s_add_co_i32 s15, s15, s3
	s_wait_kmcnt 0x0
	s_ashr_i32 s23, s22, 31
	s_ashr_i32 s25, s24, 31
	;; [unrolled: 1-line block ×3, first 2 shown]
	s_lshl_b64 s[26:27], s[12:13], 4
	s_lshl_b64 s[10:11], s[10:11], 4
	s_cmp_eq_u32 s2, 0
	s_cselect_b32 s2, ttmp9, s15
	s_delay_alu instid0(SALU_CYCLE_1) | instskip(SKIP_2) | instid1(VALU_DEP_1)
	v_lshl_or_b32 v0, s2, 8, v0
	s_mov_b32 s2, s14
	s_load_b128 s[12:15], s[0:1], 0x30
	v_mul_u64_e32 v[2:3], s[24:25], v[0:1]
	v_mul_u64_e32 v[4:5], s[2:3], v[0:1]
	s_add_nc_u64 s[2:3], s[8:9], s[10:11]
	v_cmp_gt_i64_e32 vcc_lo, s[22:23], v[0:1]
	s_wait_kmcnt 0x0
	s_add_nc_u64 s[0:1], s[14:15], s[26:27]
	s_delay_alu instid0(VALU_DEP_3) | instskip(NEXT) | instid1(VALU_DEP_3)
	v_lshl_add_u64 v[0:1], v[2:3], 4, s[2:3]
	v_lshl_add_u64 v[2:3], v[4:5], 4, s[0:1]
	s_branch .LBB56_3
.LBB56_2:                               ;   in Loop: Header=BB56_3 Depth=1
	s_wait_xcnt 0x0
	s_or_b32 exec_lo, exec_lo, s8
	s_add_co_i32 s16, s16, 0x10000
	s_delay_alu instid0(SALU_CYCLE_1)
	s_cmp_lt_u32 s16, s20
	s_cbranch_scc0 .LBB56_5
.LBB56_3:                               ; =>This Inner Loop Header: Depth=1
	s_mul_u64 s[0:1], s[6:7], s[16:17]
	s_delay_alu instid0(SALU_CYCLE_1) | instskip(NEXT) | instid1(SALU_CYCLE_1)
	s_lshl_b64 s[0:1], s[0:1], 4
	s_add_nc_u64 s[8:9], s[4:5], s[0:1]
	s_load_b128 s[0:3], s[8:9], 0x0
	s_wait_kmcnt 0x0
	s_wait_xcnt 0x0
	v_cmp_neq_f64_e64 s8, s[0:1], 0
	v_cmp_neq_f64_e64 s9, s[2:3], 0
	s_or_b32 s8, s8, s9
	s_delay_alu instid0(SALU_CYCLE_1) | instskip(NEXT) | instid1(SALU_CYCLE_1)
	s_and_b32 s9, vcc_lo, s8
	s_and_saveexec_b32 s8, s9
	s_cbranch_execz .LBB56_2
; %bb.4:                                ;   in Loop: Header=BB56_3 Depth=1
	s_mul_u64 s[10:11], s[12:13], s[16:17]
	s_delay_alu instid0(SALU_CYCLE_1) | instskip(SKIP_1) | instid1(SALU_CYCLE_1)
	v_lshl_add_u64 v[4:5], s[10:11], 4, v[0:1]
	s_mul_u64 s[10:11], s[18:19], s[16:17]
	v_lshl_add_u64 v[12:13], s[10:11], 4, v[2:3]
	global_load_b128 v[4:7], v[4:5], off
	global_load_b128 v[8:11], v[12:13], off
	s_wait_loadcnt 0x1
	v_mul_f64_e32 v[14:15], s[2:3], v[6:7]
	v_mul_f64_e32 v[6:7], s[0:1], v[6:7]
	s_delay_alu instid0(VALU_DEP_2) | instskip(NEXT) | instid1(VALU_DEP_2)
	v_fma_f64 v[14:15], s[0:1], v[4:5], -v[14:15]
	v_fmac_f64_e32 v[6:7], s[2:3], v[4:5]
	s_wait_loadcnt 0x0
	s_wait_xcnt 0x1
	s_delay_alu instid0(VALU_DEP_2) | instskip(NEXT) | instid1(VALU_DEP_2)
	v_add_f64_e32 v[4:5], v[8:9], v[14:15]
	v_add_f64_e32 v[6:7], v[6:7], v[10:11]
	global_store_b128 v[12:13], v[4:7], off
	s_branch .LBB56_2
.LBB56_5:
	s_endpgm
	.section	.rodata,"a",@progbits
	.p2align	6, 0x0
	.amdhsa_kernel _ZL19rocblas_axpy_kernelIiLi256E19rocblas_complex_numIdEPKS1_S3_PS1_EviT2_lT3_lT_lT4_lS7_li
		.amdhsa_group_segment_fixed_size 0
		.amdhsa_private_segment_fixed_size 0
		.amdhsa_kernarg_size 92
		.amdhsa_user_sgpr_count 2
		.amdhsa_user_sgpr_dispatch_ptr 0
		.amdhsa_user_sgpr_queue_ptr 0
		.amdhsa_user_sgpr_kernarg_segment_ptr 1
		.amdhsa_user_sgpr_dispatch_id 0
		.amdhsa_user_sgpr_kernarg_preload_length 0
		.amdhsa_user_sgpr_kernarg_preload_offset 0
		.amdhsa_user_sgpr_private_segment_size 0
		.amdhsa_wavefront_size32 1
		.amdhsa_uses_dynamic_stack 0
		.amdhsa_enable_private_segment 0
		.amdhsa_system_sgpr_workgroup_id_x 1
		.amdhsa_system_sgpr_workgroup_id_y 0
		.amdhsa_system_sgpr_workgroup_id_z 1
		.amdhsa_system_sgpr_workgroup_info 0
		.amdhsa_system_vgpr_workitem_id 0
		.amdhsa_next_free_vgpr 16
		.amdhsa_next_free_sgpr 28
		.amdhsa_named_barrier_count 0
		.amdhsa_reserve_vcc 1
		.amdhsa_float_round_mode_32 0
		.amdhsa_float_round_mode_16_64 0
		.amdhsa_float_denorm_mode_32 3
		.amdhsa_float_denorm_mode_16_64 3
		.amdhsa_fp16_overflow 0
		.amdhsa_memory_ordered 1
		.amdhsa_forward_progress 1
		.amdhsa_inst_pref_size 4
		.amdhsa_round_robin_scheduling 0
		.amdhsa_exception_fp_ieee_invalid_op 0
		.amdhsa_exception_fp_denorm_src 0
		.amdhsa_exception_fp_ieee_div_zero 0
		.amdhsa_exception_fp_ieee_overflow 0
		.amdhsa_exception_fp_ieee_underflow 0
		.amdhsa_exception_fp_ieee_inexact 0
		.amdhsa_exception_int_div_zero 0
	.end_amdhsa_kernel
	.section	.text._ZL19rocblas_axpy_kernelIiLi256E19rocblas_complex_numIdEPKS1_S3_PS1_EviT2_lT3_lT_lT4_lS7_li,"axG",@progbits,_ZL19rocblas_axpy_kernelIiLi256E19rocblas_complex_numIdEPKS1_S3_PS1_EviT2_lT3_lT_lT4_lS7_li,comdat
.Lfunc_end56:
	.size	_ZL19rocblas_axpy_kernelIiLi256E19rocblas_complex_numIdEPKS1_S3_PS1_EviT2_lT3_lT_lT4_lS7_li, .Lfunc_end56-_ZL19rocblas_axpy_kernelIiLi256E19rocblas_complex_numIdEPKS1_S3_PS1_EviT2_lT3_lT_lT4_lS7_li
                                        ; -- End function
	.set _ZL19rocblas_axpy_kernelIiLi256E19rocblas_complex_numIdEPKS1_S3_PS1_EviT2_lT3_lT_lT4_lS7_li.num_vgpr, 16
	.set _ZL19rocblas_axpy_kernelIiLi256E19rocblas_complex_numIdEPKS1_S3_PS1_EviT2_lT3_lT_lT4_lS7_li.num_agpr, 0
	.set _ZL19rocblas_axpy_kernelIiLi256E19rocblas_complex_numIdEPKS1_S3_PS1_EviT2_lT3_lT_lT4_lS7_li.numbered_sgpr, 28
	.set _ZL19rocblas_axpy_kernelIiLi256E19rocblas_complex_numIdEPKS1_S3_PS1_EviT2_lT3_lT_lT4_lS7_li.num_named_barrier, 0
	.set _ZL19rocblas_axpy_kernelIiLi256E19rocblas_complex_numIdEPKS1_S3_PS1_EviT2_lT3_lT_lT4_lS7_li.private_seg_size, 0
	.set _ZL19rocblas_axpy_kernelIiLi256E19rocblas_complex_numIdEPKS1_S3_PS1_EviT2_lT3_lT_lT4_lS7_li.uses_vcc, 1
	.set _ZL19rocblas_axpy_kernelIiLi256E19rocblas_complex_numIdEPKS1_S3_PS1_EviT2_lT3_lT_lT4_lS7_li.uses_flat_scratch, 0
	.set _ZL19rocblas_axpy_kernelIiLi256E19rocblas_complex_numIdEPKS1_S3_PS1_EviT2_lT3_lT_lT4_lS7_li.has_dyn_sized_stack, 0
	.set _ZL19rocblas_axpy_kernelIiLi256E19rocblas_complex_numIdEPKS1_S3_PS1_EviT2_lT3_lT_lT4_lS7_li.has_recursion, 0
	.set _ZL19rocblas_axpy_kernelIiLi256E19rocblas_complex_numIdEPKS1_S3_PS1_EviT2_lT3_lT_lT4_lS7_li.has_indirect_call, 0
	.section	.AMDGPU.csdata,"",@progbits
; Kernel info:
; codeLenInByte = 460
; TotalNumSgprs: 30
; NumVgprs: 16
; ScratchSize: 0
; MemoryBound: 0
; FloatMode: 240
; IeeeMode: 1
; LDSByteSize: 0 bytes/workgroup (compile time only)
; SGPRBlocks: 0
; VGPRBlocks: 0
; NumSGPRsForWavesPerEU: 30
; NumVGPRsForWavesPerEU: 16
; NamedBarCnt: 0
; Occupancy: 16
; WaveLimiterHint : 0
; COMPUTE_PGM_RSRC2:SCRATCH_EN: 0
; COMPUTE_PGM_RSRC2:USER_SGPR: 2
; COMPUTE_PGM_RSRC2:TRAP_HANDLER: 0
; COMPUTE_PGM_RSRC2:TGID_X_EN: 1
; COMPUTE_PGM_RSRC2:TGID_Y_EN: 0
; COMPUTE_PGM_RSRC2:TGID_Z_EN: 1
; COMPUTE_PGM_RSRC2:TIDIG_COMP_CNT: 0
	.section	.text._ZL19rocblas_axpy_kernelIiLi256E19rocblas_complex_numIdES1_PKS1_PS1_EviT2_lT3_lT_lT4_lS7_li,"axG",@progbits,_ZL19rocblas_axpy_kernelIiLi256E19rocblas_complex_numIdES1_PKS1_PS1_EviT2_lT3_lT_lT4_lS7_li,comdat
	.globl	_ZL19rocblas_axpy_kernelIiLi256E19rocblas_complex_numIdES1_PKS1_PS1_EviT2_lT3_lT_lT4_lS7_li ; -- Begin function _ZL19rocblas_axpy_kernelIiLi256E19rocblas_complex_numIdES1_PKS1_PS1_EviT2_lT3_lT_lT4_lS7_li
	.p2align	8
	.type	_ZL19rocblas_axpy_kernelIiLi256E19rocblas_complex_numIdES1_PKS1_PS1_EviT2_lT3_lT_lT4_lS7_li,@function
_ZL19rocblas_axpy_kernelIiLi256E19rocblas_complex_numIdES1_PKS1_PS1_EviT2_lT3_lT_lT4_lS7_li: ; @_ZL19rocblas_axpy_kernelIiLi256E19rocblas_complex_numIdES1_PKS1_PS1_EviT2_lT3_lT_lT4_lS7_li
; %bb.0:
	s_load_b32 s14, s[0:1], 0x60
	s_bfe_u32 s2, ttmp6, 0x40014
	s_lshr_b32 s3, ttmp7, 16
	s_add_co_i32 s2, s2, 1
	s_bfe_u32 s4, ttmp6, 0x40008
	s_mul_i32 s2, s3, s2
	s_getreg_b32 s8, hwreg(HW_REG_IB_STS2, 6, 4)
	s_add_co_i32 s4, s4, s2
	s_cmp_eq_u32 s8, 0
	s_cselect_b32 s2, s3, s4
	s_mov_b32 s3, 0
	s_wait_kmcnt 0x0
	s_cmp_ge_u32 s2, s14
	s_cbranch_scc1 .LBB57_5
; %bb.1:
	s_clause 0x4
	s_load_b32 s24, s[0:1], 0x0
	s_load_b32 s10, s[0:1], 0x30
	s_load_b96 s[20:22], s[0:1], 0x48
	s_load_b128 s[16:19], s[0:1], 0x20
	s_load_b128 s[4:7], s[0:1], 0x8
	s_bfe_u32 s9, ttmp6, 0x4000c
	s_and_b32 s11, ttmp6, 15
	s_add_co_i32 s9, s9, 1
	v_mov_b32_e32 v1, 0
	s_mul_i32 s9, ttmp9, s9
	s_delay_alu instid0(SALU_CYCLE_1)
	s_add_co_i32 s12, s11, s9
	s_wait_kmcnt 0x0
	s_ashr_i32 s25, s24, 31
	s_ashr_i32 s11, s10, 31
	;; [unrolled: 1-line block ×3, first 2 shown]
	s_lshl_b64 s[20:21], s[20:21], 4
	s_lshl_b64 s[18:19], s[18:19], 4
	s_cmp_eq_u32 s8, 0
	v_cmp_neq_f64_e64 s15, s[4:5], 0
	s_cselect_b32 s8, ttmp9, s12
	s_delay_alu instid0(SALU_CYCLE_1) | instskip(SKIP_2) | instid1(VALU_DEP_2)
	v_lshl_or_b32 v0, s8, 8, v0
	s_mov_b32 s8, s22
	v_cmp_neq_f64_e64 s22, s[6:7], 0
	v_mul_u64_e32 v[2:3], s[10:11], v[0:1]
	v_mul_u64_e32 v[4:5], s[8:9], v[0:1]
	s_clause 0x1
	s_load_b128 s[8:11], s[0:1], 0x38
	s_load_b64 s[12:13], s[0:1], 0x58
	v_cmp_gt_i64_e32 vcc_lo, s[24:25], v[0:1]
	s_wait_xcnt 0x0
	s_add_nc_u64 s[0:1], s[16:17], s[18:19]
	s_wait_kmcnt 0x0
	s_add_nc_u64 s[10:11], s[10:11], s[20:21]
	s_delay_alu instid0(VALU_DEP_3) | instskip(NEXT) | instid1(VALU_DEP_3)
	v_lshl_add_u64 v[0:1], v[2:3], 4, s[0:1]
	v_lshl_add_u64 v[2:3], v[4:5], 4, s[10:11]
	s_or_b32 s0, s15, s22
	s_delay_alu instid0(SALU_CYCLE_1)
	s_and_b32 s0, vcc_lo, s0
	s_branch .LBB57_3
.LBB57_2:                               ;   in Loop: Header=BB57_3 Depth=1
	s_wait_xcnt 0x0
	s_or_b32 exec_lo, exec_lo, s1
	s_add_co_i32 s2, s2, 0x10000
	s_delay_alu instid0(SALU_CYCLE_1)
	s_cmp_lt_u32 s2, s14
	s_cbranch_scc0 .LBB57_5
.LBB57_3:                               ; =>This Inner Loop Header: Depth=1
	s_and_saveexec_b32 s1, s0
	s_cbranch_execz .LBB57_2
; %bb.4:                                ;   in Loop: Header=BB57_3 Depth=1
	s_mul_u64 s[10:11], s[8:9], s[2:3]
	s_delay_alu instid0(SALU_CYCLE_1) | instskip(SKIP_1) | instid1(SALU_CYCLE_1)
	v_lshl_add_u64 v[4:5], s[10:11], 4, v[0:1]
	s_mul_u64 s[10:11], s[12:13], s[2:3]
	v_lshl_add_u64 v[12:13], s[10:11], 4, v[2:3]
	global_load_b128 v[4:7], v[4:5], off
	global_load_b128 v[8:11], v[12:13], off
	s_wait_loadcnt 0x1
	v_mul_f64_e32 v[14:15], s[6:7], v[6:7]
	v_mul_f64_e32 v[6:7], s[4:5], v[6:7]
	s_delay_alu instid0(VALU_DEP_2) | instskip(NEXT) | instid1(VALU_DEP_2)
	v_fma_f64 v[14:15], s[4:5], v[4:5], -v[14:15]
	v_fmac_f64_e32 v[6:7], s[6:7], v[4:5]
	s_wait_loadcnt 0x0
	s_wait_xcnt 0x1
	s_delay_alu instid0(VALU_DEP_2) | instskip(NEXT) | instid1(VALU_DEP_2)
	v_add_f64_e32 v[4:5], v[8:9], v[14:15]
	v_add_f64_e32 v[6:7], v[6:7], v[10:11]
	global_store_b128 v[12:13], v[4:7], off
	s_branch .LBB57_2
.LBB57_5:
	s_endpgm
	.section	.rodata,"a",@progbits
	.p2align	6, 0x0
	.amdhsa_kernel _ZL19rocblas_axpy_kernelIiLi256E19rocblas_complex_numIdES1_PKS1_PS1_EviT2_lT3_lT_lT4_lS7_li
		.amdhsa_group_segment_fixed_size 0
		.amdhsa_private_segment_fixed_size 0
		.amdhsa_kernarg_size 100
		.amdhsa_user_sgpr_count 2
		.amdhsa_user_sgpr_dispatch_ptr 0
		.amdhsa_user_sgpr_queue_ptr 0
		.amdhsa_user_sgpr_kernarg_segment_ptr 1
		.amdhsa_user_sgpr_dispatch_id 0
		.amdhsa_user_sgpr_kernarg_preload_length 0
		.amdhsa_user_sgpr_kernarg_preload_offset 0
		.amdhsa_user_sgpr_private_segment_size 0
		.amdhsa_wavefront_size32 1
		.amdhsa_uses_dynamic_stack 0
		.amdhsa_enable_private_segment 0
		.amdhsa_system_sgpr_workgroup_id_x 1
		.amdhsa_system_sgpr_workgroup_id_y 0
		.amdhsa_system_sgpr_workgroup_id_z 1
		.amdhsa_system_sgpr_workgroup_info 0
		.amdhsa_system_vgpr_workitem_id 0
		.amdhsa_next_free_vgpr 16
		.amdhsa_next_free_sgpr 26
		.amdhsa_named_barrier_count 0
		.amdhsa_reserve_vcc 1
		.amdhsa_float_round_mode_32 0
		.amdhsa_float_round_mode_16_64 0
		.amdhsa_float_denorm_mode_32 3
		.amdhsa_float_denorm_mode_16_64 3
		.amdhsa_fp16_overflow 0
		.amdhsa_memory_ordered 1
		.amdhsa_forward_progress 1
		.amdhsa_inst_pref_size 4
		.amdhsa_round_robin_scheduling 0
		.amdhsa_exception_fp_ieee_invalid_op 0
		.amdhsa_exception_fp_denorm_src 0
		.amdhsa_exception_fp_ieee_div_zero 0
		.amdhsa_exception_fp_ieee_overflow 0
		.amdhsa_exception_fp_ieee_underflow 0
		.amdhsa_exception_fp_ieee_inexact 0
		.amdhsa_exception_int_div_zero 0
	.end_amdhsa_kernel
	.section	.text._ZL19rocblas_axpy_kernelIiLi256E19rocblas_complex_numIdES1_PKS1_PS1_EviT2_lT3_lT_lT4_lS7_li,"axG",@progbits,_ZL19rocblas_axpy_kernelIiLi256E19rocblas_complex_numIdES1_PKS1_PS1_EviT2_lT3_lT_lT4_lS7_li,comdat
.Lfunc_end57:
	.size	_ZL19rocblas_axpy_kernelIiLi256E19rocblas_complex_numIdES1_PKS1_PS1_EviT2_lT3_lT_lT4_lS7_li, .Lfunc_end57-_ZL19rocblas_axpy_kernelIiLi256E19rocblas_complex_numIdES1_PKS1_PS1_EviT2_lT3_lT_lT4_lS7_li
                                        ; -- End function
	.set _ZL19rocblas_axpy_kernelIiLi256E19rocblas_complex_numIdES1_PKS1_PS1_EviT2_lT3_lT_lT4_lS7_li.num_vgpr, 16
	.set _ZL19rocblas_axpy_kernelIiLi256E19rocblas_complex_numIdES1_PKS1_PS1_EviT2_lT3_lT_lT4_lS7_li.num_agpr, 0
	.set _ZL19rocblas_axpy_kernelIiLi256E19rocblas_complex_numIdES1_PKS1_PS1_EviT2_lT3_lT_lT4_lS7_li.numbered_sgpr, 26
	.set _ZL19rocblas_axpy_kernelIiLi256E19rocblas_complex_numIdES1_PKS1_PS1_EviT2_lT3_lT_lT4_lS7_li.num_named_barrier, 0
	.set _ZL19rocblas_axpy_kernelIiLi256E19rocblas_complex_numIdES1_PKS1_PS1_EviT2_lT3_lT_lT4_lS7_li.private_seg_size, 0
	.set _ZL19rocblas_axpy_kernelIiLi256E19rocblas_complex_numIdES1_PKS1_PS1_EviT2_lT3_lT_lT4_lS7_li.uses_vcc, 1
	.set _ZL19rocblas_axpy_kernelIiLi256E19rocblas_complex_numIdES1_PKS1_PS1_EviT2_lT3_lT_lT4_lS7_li.uses_flat_scratch, 0
	.set _ZL19rocblas_axpy_kernelIiLi256E19rocblas_complex_numIdES1_PKS1_PS1_EviT2_lT3_lT_lT4_lS7_li.has_dyn_sized_stack, 0
	.set _ZL19rocblas_axpy_kernelIiLi256E19rocblas_complex_numIdES1_PKS1_PS1_EviT2_lT3_lT_lT4_lS7_li.has_recursion, 0
	.set _ZL19rocblas_axpy_kernelIiLi256E19rocblas_complex_numIdES1_PKS1_PS1_EviT2_lT3_lT_lT4_lS7_li.has_indirect_call, 0
	.section	.AMDGPU.csdata,"",@progbits
; Kernel info:
; codeLenInByte = 448
; TotalNumSgprs: 28
; NumVgprs: 16
; ScratchSize: 0
; MemoryBound: 0
; FloatMode: 240
; IeeeMode: 1
; LDSByteSize: 0 bytes/workgroup (compile time only)
; SGPRBlocks: 0
; VGPRBlocks: 0
; NumSGPRsForWavesPerEU: 28
; NumVGPRsForWavesPerEU: 16
; NamedBarCnt: 0
; Occupancy: 16
; WaveLimiterHint : 1
; COMPUTE_PGM_RSRC2:SCRATCH_EN: 0
; COMPUTE_PGM_RSRC2:USER_SGPR: 2
; COMPUTE_PGM_RSRC2:TRAP_HANDLER: 0
; COMPUTE_PGM_RSRC2:TGID_X_EN: 1
; COMPUTE_PGM_RSRC2:TGID_Y_EN: 0
; COMPUTE_PGM_RSRC2:TGID_Z_EN: 1
; COMPUTE_PGM_RSRC2:TIDIG_COMP_CNT: 0
	.section	.text._ZL19rocblas_axpy_kernelIlLi256E19rocblas_complex_numIdEPKS1_S3_PS1_EviT2_lT3_lT_lT4_lS7_li,"axG",@progbits,_ZL19rocblas_axpy_kernelIlLi256E19rocblas_complex_numIdEPKS1_S3_PS1_EviT2_lT3_lT_lT4_lS7_li,comdat
	.globl	_ZL19rocblas_axpy_kernelIlLi256E19rocblas_complex_numIdEPKS1_S3_PS1_EviT2_lT3_lT_lT4_lS7_li ; -- Begin function _ZL19rocblas_axpy_kernelIlLi256E19rocblas_complex_numIdEPKS1_S3_PS1_EviT2_lT3_lT_lT4_lS7_li
	.p2align	8
	.type	_ZL19rocblas_axpy_kernelIlLi256E19rocblas_complex_numIdEPKS1_S3_PS1_EviT2_lT3_lT_lT4_lS7_li,@function
_ZL19rocblas_axpy_kernelIlLi256E19rocblas_complex_numIdEPKS1_S3_PS1_EviT2_lT3_lT_lT4_lS7_li: ; @_ZL19rocblas_axpy_kernelIlLi256E19rocblas_complex_numIdEPKS1_S3_PS1_EviT2_lT3_lT_lT4_lS7_li
; %bb.0:
	s_load_b32 s18, s[0:1], 0x58
	s_bfe_u32 s2, ttmp6, 0x40014
	s_lshr_b32 s3, ttmp7, 16
	s_add_co_i32 s2, s2, 1
	s_bfe_u32 s5, ttmp6, 0x40008
	s_mul_i32 s4, s3, s2
	s_getreg_b32 s2, hwreg(HW_REG_IB_STS2, 6, 4)
	s_add_co_i32 s5, s5, s4
	s_cmp_eq_u32 s2, 0
	s_mov_b32 s17, 0
	s_cselect_b32 s16, s3, s5
	s_wait_kmcnt 0x0
	s_cmp_ge_u32 s16, s18
	s_cbranch_scc1 .LBB58_5
; %bb.1:
	s_clause 0x2
	s_load_b32 s24, s[0:1], 0x0
	s_load_b256 s[4:11], s[0:1], 0x30
	s_load_b128 s[20:23], s[0:1], 0x20
	s_bfe_u32 s3, ttmp6, 0x4000c
	s_and_b32 s19, ttmp6, 15
	s_add_co_i32 s3, s3, 1
	v_mov_b32_e32 v1, 0
	s_mul_i32 s3, ttmp9, s3
	s_load_b128 s[12:15], s[0:1], 0x8
	s_add_co_i32 s19, s19, s3
	s_wait_kmcnt 0x0
	s_ashr_i32 s25, s24, 31
	s_lshl_b64 s[26:27], s[8:9], 4
	s_lshl_b64 s[20:21], s[20:21], 4
	s_cmp_eq_u32 s2, 0
	s_cselect_b32 s2, ttmp9, s19
	s_delay_alu instid0(SALU_CYCLE_1)
	v_lshl_or_b32 v0, s2, 8, v0
	s_clause 0x1
	s_load_b64 s[2:3], s[0:1], 0x18
	s_load_b64 s[8:9], s[0:1], 0x50
	s_wait_xcnt 0x0
	s_add_nc_u64 s[0:1], s[6:7], s[26:27]
	v_mul_u64_e32 v[2:3], s[22:23], v[0:1]
	v_mul_u64_e32 v[4:5], s[10:11], v[0:1]
	v_cmp_gt_i64_e32 vcc_lo, s[24:25], v[0:1]
	s_wait_kmcnt 0x0
	s_add_nc_u64 s[2:3], s[2:3], s[20:21]
	s_delay_alu instid0(VALU_DEP_3) | instid1(SALU_CYCLE_1)
	v_lshl_add_u64 v[0:1], v[2:3], 4, s[2:3]
	s_delay_alu instid0(VALU_DEP_3)
	v_lshl_add_u64 v[2:3], v[4:5], 4, s[0:1]
	s_branch .LBB58_3
.LBB58_2:                               ;   in Loop: Header=BB58_3 Depth=1
	s_wait_xcnt 0x0
	s_or_b32 exec_lo, exec_lo, s6
	s_add_co_i32 s16, s16, 0x10000
	s_delay_alu instid0(SALU_CYCLE_1)
	s_cmp_lt_u32 s16, s18
	s_cbranch_scc0 .LBB58_5
.LBB58_3:                               ; =>This Inner Loop Header: Depth=1
	s_mul_u64 s[0:1], s[14:15], s[16:17]
	s_delay_alu instid0(SALU_CYCLE_1) | instskip(NEXT) | instid1(SALU_CYCLE_1)
	s_lshl_b64 s[0:1], s[0:1], 4
	s_add_nc_u64 s[6:7], s[12:13], s[0:1]
	s_load_b128 s[0:3], s[6:7], 0x0
	s_wait_kmcnt 0x0
	s_wait_xcnt 0x0
	v_cmp_neq_f64_e64 s6, s[0:1], 0
	v_cmp_neq_f64_e64 s7, s[2:3], 0
	s_or_b32 s6, s6, s7
	s_delay_alu instid0(SALU_CYCLE_1) | instskip(NEXT) | instid1(SALU_CYCLE_1)
	s_and_b32 s7, vcc_lo, s6
	s_and_saveexec_b32 s6, s7
	s_cbranch_execz .LBB58_2
; %bb.4:                                ;   in Loop: Header=BB58_3 Depth=1
	s_mul_u64 s[10:11], s[4:5], s[16:17]
	s_delay_alu instid0(SALU_CYCLE_1) | instskip(SKIP_1) | instid1(SALU_CYCLE_1)
	v_lshl_add_u64 v[4:5], s[10:11], 4, v[0:1]
	s_mul_u64 s[10:11], s[8:9], s[16:17]
	v_lshl_add_u64 v[12:13], s[10:11], 4, v[2:3]
	global_load_b128 v[4:7], v[4:5], off
	global_load_b128 v[8:11], v[12:13], off
	s_wait_loadcnt 0x1
	v_mul_f64_e32 v[14:15], s[2:3], v[6:7]
	v_mul_f64_e32 v[6:7], s[0:1], v[6:7]
	s_delay_alu instid0(VALU_DEP_2) | instskip(NEXT) | instid1(VALU_DEP_2)
	v_fma_f64 v[14:15], s[0:1], v[4:5], -v[14:15]
	v_fmac_f64_e32 v[6:7], s[2:3], v[4:5]
	s_wait_loadcnt 0x0
	s_wait_xcnt 0x1
	s_delay_alu instid0(VALU_DEP_2) | instskip(NEXT) | instid1(VALU_DEP_2)
	v_add_f64_e32 v[4:5], v[8:9], v[14:15]
	v_add_f64_e32 v[6:7], v[6:7], v[10:11]
	global_store_b128 v[12:13], v[4:7], off
	s_branch .LBB58_2
.LBB58_5:
	s_endpgm
	.section	.rodata,"a",@progbits
	.p2align	6, 0x0
	.amdhsa_kernel _ZL19rocblas_axpy_kernelIlLi256E19rocblas_complex_numIdEPKS1_S3_PS1_EviT2_lT3_lT_lT4_lS7_li
		.amdhsa_group_segment_fixed_size 0
		.amdhsa_private_segment_fixed_size 0
		.amdhsa_kernarg_size 92
		.amdhsa_user_sgpr_count 2
		.amdhsa_user_sgpr_dispatch_ptr 0
		.amdhsa_user_sgpr_queue_ptr 0
		.amdhsa_user_sgpr_kernarg_segment_ptr 1
		.amdhsa_user_sgpr_dispatch_id 0
		.amdhsa_user_sgpr_kernarg_preload_length 0
		.amdhsa_user_sgpr_kernarg_preload_offset 0
		.amdhsa_user_sgpr_private_segment_size 0
		.amdhsa_wavefront_size32 1
		.amdhsa_uses_dynamic_stack 0
		.amdhsa_enable_private_segment 0
		.amdhsa_system_sgpr_workgroup_id_x 1
		.amdhsa_system_sgpr_workgroup_id_y 0
		.amdhsa_system_sgpr_workgroup_id_z 1
		.amdhsa_system_sgpr_workgroup_info 0
		.amdhsa_system_vgpr_workitem_id 0
		.amdhsa_next_free_vgpr 16
		.amdhsa_next_free_sgpr 28
		.amdhsa_named_barrier_count 0
		.amdhsa_reserve_vcc 1
		.amdhsa_float_round_mode_32 0
		.amdhsa_float_round_mode_16_64 0
		.amdhsa_float_denorm_mode_32 3
		.amdhsa_float_denorm_mode_16_64 3
		.amdhsa_fp16_overflow 0
		.amdhsa_memory_ordered 1
		.amdhsa_forward_progress 1
		.amdhsa_inst_pref_size 4
		.amdhsa_round_robin_scheduling 0
		.amdhsa_exception_fp_ieee_invalid_op 0
		.amdhsa_exception_fp_denorm_src 0
		.amdhsa_exception_fp_ieee_div_zero 0
		.amdhsa_exception_fp_ieee_overflow 0
		.amdhsa_exception_fp_ieee_underflow 0
		.amdhsa_exception_fp_ieee_inexact 0
		.amdhsa_exception_int_div_zero 0
	.end_amdhsa_kernel
	.section	.text._ZL19rocblas_axpy_kernelIlLi256E19rocblas_complex_numIdEPKS1_S3_PS1_EviT2_lT3_lT_lT4_lS7_li,"axG",@progbits,_ZL19rocblas_axpy_kernelIlLi256E19rocblas_complex_numIdEPKS1_S3_PS1_EviT2_lT3_lT_lT4_lS7_li,comdat
.Lfunc_end58:
	.size	_ZL19rocblas_axpy_kernelIlLi256E19rocblas_complex_numIdEPKS1_S3_PS1_EviT2_lT3_lT_lT4_lS7_li, .Lfunc_end58-_ZL19rocblas_axpy_kernelIlLi256E19rocblas_complex_numIdEPKS1_S3_PS1_EviT2_lT3_lT_lT4_lS7_li
                                        ; -- End function
	.set _ZL19rocblas_axpy_kernelIlLi256E19rocblas_complex_numIdEPKS1_S3_PS1_EviT2_lT3_lT_lT4_lS7_li.num_vgpr, 16
	.set _ZL19rocblas_axpy_kernelIlLi256E19rocblas_complex_numIdEPKS1_S3_PS1_EviT2_lT3_lT_lT4_lS7_li.num_agpr, 0
	.set _ZL19rocblas_axpy_kernelIlLi256E19rocblas_complex_numIdEPKS1_S3_PS1_EviT2_lT3_lT_lT4_lS7_li.numbered_sgpr, 28
	.set _ZL19rocblas_axpy_kernelIlLi256E19rocblas_complex_numIdEPKS1_S3_PS1_EviT2_lT3_lT_lT4_lS7_li.num_named_barrier, 0
	.set _ZL19rocblas_axpy_kernelIlLi256E19rocblas_complex_numIdEPKS1_S3_PS1_EviT2_lT3_lT_lT4_lS7_li.private_seg_size, 0
	.set _ZL19rocblas_axpy_kernelIlLi256E19rocblas_complex_numIdEPKS1_S3_PS1_EviT2_lT3_lT_lT4_lS7_li.uses_vcc, 1
	.set _ZL19rocblas_axpy_kernelIlLi256E19rocblas_complex_numIdEPKS1_S3_PS1_EviT2_lT3_lT_lT4_lS7_li.uses_flat_scratch, 0
	.set _ZL19rocblas_axpy_kernelIlLi256E19rocblas_complex_numIdEPKS1_S3_PS1_EviT2_lT3_lT_lT4_lS7_li.has_dyn_sized_stack, 0
	.set _ZL19rocblas_axpy_kernelIlLi256E19rocblas_complex_numIdEPKS1_S3_PS1_EviT2_lT3_lT_lT4_lS7_li.has_recursion, 0
	.set _ZL19rocblas_axpy_kernelIlLi256E19rocblas_complex_numIdEPKS1_S3_PS1_EviT2_lT3_lT_lT4_lS7_li.has_indirect_call, 0
	.section	.AMDGPU.csdata,"",@progbits
; Kernel info:
; codeLenInByte = 460
; TotalNumSgprs: 30
; NumVgprs: 16
; ScratchSize: 0
; MemoryBound: 0
; FloatMode: 240
; IeeeMode: 1
; LDSByteSize: 0 bytes/workgroup (compile time only)
; SGPRBlocks: 0
; VGPRBlocks: 0
; NumSGPRsForWavesPerEU: 30
; NumVGPRsForWavesPerEU: 16
; NamedBarCnt: 0
; Occupancy: 16
; WaveLimiterHint : 0
; COMPUTE_PGM_RSRC2:SCRATCH_EN: 0
; COMPUTE_PGM_RSRC2:USER_SGPR: 2
; COMPUTE_PGM_RSRC2:TRAP_HANDLER: 0
; COMPUTE_PGM_RSRC2:TGID_X_EN: 1
; COMPUTE_PGM_RSRC2:TGID_Y_EN: 0
; COMPUTE_PGM_RSRC2:TGID_Z_EN: 1
; COMPUTE_PGM_RSRC2:TIDIG_COMP_CNT: 0
	.section	.text._ZL19rocblas_axpy_kernelIlLi256E19rocblas_complex_numIdES1_PKS1_PS1_EviT2_lT3_lT_lT4_lS7_li,"axG",@progbits,_ZL19rocblas_axpy_kernelIlLi256E19rocblas_complex_numIdES1_PKS1_PS1_EviT2_lT3_lT_lT4_lS7_li,comdat
	.globl	_ZL19rocblas_axpy_kernelIlLi256E19rocblas_complex_numIdES1_PKS1_PS1_EviT2_lT3_lT_lT4_lS7_li ; -- Begin function _ZL19rocblas_axpy_kernelIlLi256E19rocblas_complex_numIdES1_PKS1_PS1_EviT2_lT3_lT_lT4_lS7_li
	.p2align	8
	.type	_ZL19rocblas_axpy_kernelIlLi256E19rocblas_complex_numIdES1_PKS1_PS1_EviT2_lT3_lT_lT4_lS7_li,@function
_ZL19rocblas_axpy_kernelIlLi256E19rocblas_complex_numIdES1_PKS1_PS1_EviT2_lT3_lT_lT4_lS7_li: ; @_ZL19rocblas_axpy_kernelIlLi256E19rocblas_complex_numIdES1_PKS1_PS1_EviT2_lT3_lT_lT4_lS7_li
; %bb.0:
	s_load_b32 s16, s[0:1], 0x60
	s_bfe_u32 s2, ttmp6, 0x40014
	s_lshr_b32 s3, ttmp7, 16
	s_add_co_i32 s2, s2, 1
	s_bfe_u32 s4, ttmp6, 0x40008
	s_mul_i32 s2, s3, s2
	s_getreg_b32 s17, hwreg(HW_REG_IB_STS2, 6, 4)
	s_add_co_i32 s4, s4, s2
	s_cmp_eq_u32 s17, 0
	s_cselect_b32 s2, s3, s4
	s_mov_b32 s3, 0
	s_wait_kmcnt 0x0
	s_cmp_ge_u32 s2, s16
	s_cbranch_scc1 .LBB59_5
; %bb.1:
	s_clause 0x3
	s_load_b32 s18, s[0:1], 0x0
	s_load_b256 s[4:11], s[0:1], 0x38
	s_load_b128 s[20:23], s[0:1], 0x28
	s_load_b128 s[12:15], s[0:1], 0x8
	s_bfe_u32 s19, ttmp6, 0x4000c
	s_and_b32 s24, ttmp6, 15
	s_add_co_i32 s19, s19, 1
	v_mov_b32_e32 v1, 0
	s_mul_i32 s19, ttmp9, s19
	s_delay_alu instid0(SALU_CYCLE_1)
	s_add_co_i32 s26, s24, s19
	s_wait_kmcnt 0x0
	s_ashr_i32 s19, s18, 31
	s_lshl_b64 s[24:25], s[8:9], 4
	s_lshl_b64 s[20:21], s[20:21], 4
	s_cmp_eq_u32 s17, 0
	v_cmp_neq_f64_e64 s17, s[12:13], 0
	s_cselect_b32 s8, ttmp9, s26
	s_add_nc_u64 s[6:7], s[6:7], s[24:25]
	v_lshl_or_b32 v0, s8, 8, v0
	s_delay_alu instid0(VALU_DEP_1)
	v_mul_u64_e32 v[2:3], s[22:23], v[0:1]
	v_mul_u64_e32 v[4:5], s[10:11], v[0:1]
	v_cmp_neq_f64_e64 s22, s[14:15], 0
	s_clause 0x1
	s_load_b64 s[10:11], s[0:1], 0x20
	s_load_b64 s[8:9], s[0:1], 0x58
	v_cmp_gt_i64_e32 vcc_lo, s[18:19], v[0:1]
	s_wait_kmcnt 0x0
	s_add_nc_u64 s[0:1], s[10:11], s[20:21]
	s_delay_alu instid0(SALU_CYCLE_1) | instskip(SKIP_2) | instid1(SALU_CYCLE_1)
	v_lshl_add_u64 v[0:1], v[2:3], 4, s[0:1]
	v_lshl_add_u64 v[2:3], v[4:5], 4, s[6:7]
	s_or_b32 s0, s17, s22
	s_and_b32 s0, vcc_lo, s0
	s_branch .LBB59_3
.LBB59_2:                               ;   in Loop: Header=BB59_3 Depth=1
	s_wait_xcnt 0x0
	s_or_b32 exec_lo, exec_lo, s1
	s_add_co_i32 s2, s2, 0x10000
	s_delay_alu instid0(SALU_CYCLE_1)
	s_cmp_lt_u32 s2, s16
	s_cbranch_scc0 .LBB59_5
.LBB59_3:                               ; =>This Inner Loop Header: Depth=1
	s_and_saveexec_b32 s1, s0
	s_cbranch_execz .LBB59_2
; %bb.4:                                ;   in Loop: Header=BB59_3 Depth=1
	s_mul_u64 s[6:7], s[4:5], s[2:3]
	s_delay_alu instid0(SALU_CYCLE_1) | instskip(SKIP_1) | instid1(SALU_CYCLE_1)
	v_lshl_add_u64 v[4:5], s[6:7], 4, v[0:1]
	s_mul_u64 s[6:7], s[8:9], s[2:3]
	v_lshl_add_u64 v[12:13], s[6:7], 4, v[2:3]
	global_load_b128 v[4:7], v[4:5], off
	global_load_b128 v[8:11], v[12:13], off
	s_wait_loadcnt 0x1
	v_mul_f64_e32 v[14:15], s[14:15], v[6:7]
	v_mul_f64_e32 v[6:7], s[12:13], v[6:7]
	s_delay_alu instid0(VALU_DEP_2) | instskip(NEXT) | instid1(VALU_DEP_2)
	v_fma_f64 v[14:15], s[12:13], v[4:5], -v[14:15]
	v_fmac_f64_e32 v[6:7], s[14:15], v[4:5]
	s_wait_loadcnt 0x0
	s_wait_xcnt 0x1
	s_delay_alu instid0(VALU_DEP_2) | instskip(NEXT) | instid1(VALU_DEP_2)
	v_add_f64_e32 v[4:5], v[8:9], v[14:15]
	v_add_f64_e32 v[6:7], v[6:7], v[10:11]
	global_store_b128 v[12:13], v[4:7], off
	s_branch .LBB59_2
.LBB59_5:
	s_endpgm
	.section	.rodata,"a",@progbits
	.p2align	6, 0x0
	.amdhsa_kernel _ZL19rocblas_axpy_kernelIlLi256E19rocblas_complex_numIdES1_PKS1_PS1_EviT2_lT3_lT_lT4_lS7_li
		.amdhsa_group_segment_fixed_size 0
		.amdhsa_private_segment_fixed_size 0
		.amdhsa_kernarg_size 100
		.amdhsa_user_sgpr_count 2
		.amdhsa_user_sgpr_dispatch_ptr 0
		.amdhsa_user_sgpr_queue_ptr 0
		.amdhsa_user_sgpr_kernarg_segment_ptr 1
		.amdhsa_user_sgpr_dispatch_id 0
		.amdhsa_user_sgpr_kernarg_preload_length 0
		.amdhsa_user_sgpr_kernarg_preload_offset 0
		.amdhsa_user_sgpr_private_segment_size 0
		.amdhsa_wavefront_size32 1
		.amdhsa_uses_dynamic_stack 0
		.amdhsa_enable_private_segment 0
		.amdhsa_system_sgpr_workgroup_id_x 1
		.amdhsa_system_sgpr_workgroup_id_y 0
		.amdhsa_system_sgpr_workgroup_id_z 1
		.amdhsa_system_sgpr_workgroup_info 0
		.amdhsa_system_vgpr_workitem_id 0
		.amdhsa_next_free_vgpr 16
		.amdhsa_next_free_sgpr 27
		.amdhsa_named_barrier_count 0
		.amdhsa_reserve_vcc 1
		.amdhsa_float_round_mode_32 0
		.amdhsa_float_round_mode_16_64 0
		.amdhsa_float_denorm_mode_32 3
		.amdhsa_float_denorm_mode_16_64 3
		.amdhsa_fp16_overflow 0
		.amdhsa_memory_ordered 1
		.amdhsa_forward_progress 1
		.amdhsa_inst_pref_size 4
		.amdhsa_round_robin_scheduling 0
		.amdhsa_exception_fp_ieee_invalid_op 0
		.amdhsa_exception_fp_denorm_src 0
		.amdhsa_exception_fp_ieee_div_zero 0
		.amdhsa_exception_fp_ieee_overflow 0
		.amdhsa_exception_fp_ieee_underflow 0
		.amdhsa_exception_fp_ieee_inexact 0
		.amdhsa_exception_int_div_zero 0
	.end_amdhsa_kernel
	.section	.text._ZL19rocblas_axpy_kernelIlLi256E19rocblas_complex_numIdES1_PKS1_PS1_EviT2_lT3_lT_lT4_lS7_li,"axG",@progbits,_ZL19rocblas_axpy_kernelIlLi256E19rocblas_complex_numIdES1_PKS1_PS1_EviT2_lT3_lT_lT4_lS7_li,comdat
.Lfunc_end59:
	.size	_ZL19rocblas_axpy_kernelIlLi256E19rocblas_complex_numIdES1_PKS1_PS1_EviT2_lT3_lT_lT4_lS7_li, .Lfunc_end59-_ZL19rocblas_axpy_kernelIlLi256E19rocblas_complex_numIdES1_PKS1_PS1_EviT2_lT3_lT_lT4_lS7_li
                                        ; -- End function
	.set _ZL19rocblas_axpy_kernelIlLi256E19rocblas_complex_numIdES1_PKS1_PS1_EviT2_lT3_lT_lT4_lS7_li.num_vgpr, 16
	.set _ZL19rocblas_axpy_kernelIlLi256E19rocblas_complex_numIdES1_PKS1_PS1_EviT2_lT3_lT_lT4_lS7_li.num_agpr, 0
	.set _ZL19rocblas_axpy_kernelIlLi256E19rocblas_complex_numIdES1_PKS1_PS1_EviT2_lT3_lT_lT4_lS7_li.numbered_sgpr, 27
	.set _ZL19rocblas_axpy_kernelIlLi256E19rocblas_complex_numIdES1_PKS1_PS1_EviT2_lT3_lT_lT4_lS7_li.num_named_barrier, 0
	.set _ZL19rocblas_axpy_kernelIlLi256E19rocblas_complex_numIdES1_PKS1_PS1_EviT2_lT3_lT_lT4_lS7_li.private_seg_size, 0
	.set _ZL19rocblas_axpy_kernelIlLi256E19rocblas_complex_numIdES1_PKS1_PS1_EviT2_lT3_lT_lT4_lS7_li.uses_vcc, 1
	.set _ZL19rocblas_axpy_kernelIlLi256E19rocblas_complex_numIdES1_PKS1_PS1_EviT2_lT3_lT_lT4_lS7_li.uses_flat_scratch, 0
	.set _ZL19rocblas_axpy_kernelIlLi256E19rocblas_complex_numIdES1_PKS1_PS1_EviT2_lT3_lT_lT4_lS7_li.has_dyn_sized_stack, 0
	.set _ZL19rocblas_axpy_kernelIlLi256E19rocblas_complex_numIdES1_PKS1_PS1_EviT2_lT3_lT_lT4_lS7_li.has_recursion, 0
	.set _ZL19rocblas_axpy_kernelIlLi256E19rocblas_complex_numIdES1_PKS1_PS1_EviT2_lT3_lT_lT4_lS7_li.has_indirect_call, 0
	.section	.AMDGPU.csdata,"",@progbits
; Kernel info:
; codeLenInByte = 420
; TotalNumSgprs: 29
; NumVgprs: 16
; ScratchSize: 0
; MemoryBound: 0
; FloatMode: 240
; IeeeMode: 1
; LDSByteSize: 0 bytes/workgroup (compile time only)
; SGPRBlocks: 0
; VGPRBlocks: 0
; NumSGPRsForWavesPerEU: 29
; NumVGPRsForWavesPerEU: 16
; NamedBarCnt: 0
; Occupancy: 16
; WaveLimiterHint : 0
; COMPUTE_PGM_RSRC2:SCRATCH_EN: 0
; COMPUTE_PGM_RSRC2:USER_SGPR: 2
; COMPUTE_PGM_RSRC2:TRAP_HANDLER: 0
; COMPUTE_PGM_RSRC2:TGID_X_EN: 1
; COMPUTE_PGM_RSRC2:TGID_Y_EN: 0
; COMPUTE_PGM_RSRC2:TGID_Z_EN: 1
; COMPUTE_PGM_RSRC2:TIDIG_COMP_CNT: 0
	.section	.text._ZL26rocblas_haxpy_mlt_8_kernelILi256EPKDF16_PKS1_PKPDF16_EviT0_lT1_llT2_lli,"axG",@progbits,_ZL26rocblas_haxpy_mlt_8_kernelILi256EPKDF16_PKS1_PKPDF16_EviT0_lT1_llT2_lli,comdat
	.globl	_ZL26rocblas_haxpy_mlt_8_kernelILi256EPKDF16_PKS1_PKPDF16_EviT0_lT1_llT2_lli ; -- Begin function _ZL26rocblas_haxpy_mlt_8_kernelILi256EPKDF16_PKS1_PKPDF16_EviT0_lT1_llT2_lli
	.p2align	8
	.type	_ZL26rocblas_haxpy_mlt_8_kernelILi256EPKDF16_PKS1_PKPDF16_EviT0_lT1_llT2_lli,@function
_ZL26rocblas_haxpy_mlt_8_kernelILi256EPKDF16_PKS1_PKPDF16_EviT0_lT1_llT2_lli: ; @_ZL26rocblas_haxpy_mlt_8_kernelILi256EPKDF16_PKS1_PKPDF16_EviT0_lT1_llT2_lli
; %bb.0:
	s_load_b32 s14, s[0:1], 0x48
	s_bfe_u32 s2, ttmp6, 0x40014
	s_lshr_b32 s3, ttmp7, 16
	s_add_co_i32 s2, s2, 1
	s_bfe_u32 s5, ttmp6, 0x40008
	s_mul_i32 s4, s3, s2
	s_getreg_b32 s2, hwreg(HW_REG_IB_STS2, 6, 4)
	s_add_co_i32 s5, s5, s4
	s_cmp_eq_u32 s2, 0
	s_mov_b32 s13, 0
	s_cselect_b32 s12, s3, s5
	s_wait_kmcnt 0x0
	s_cmp_ge_u32 s12, s14
	s_cbranch_scc1 .LBB60_5
; %bb.1:
	s_load_b32 s16, s[0:1], 0x0
	s_bfe_u32 s3, ttmp6, 0x4000c
	s_and_b32 s15, ttmp6, 15
	s_add_co_i32 s3, s3, 1
	s_load_b256 s[4:11], s[0:1], 0x8
	s_mul_i32 s3, ttmp9, s3
	v_mov_b32_e32 v1, 0
	s_add_co_i32 s15, s15, s3
	s_wait_kmcnt 0x0
	s_ashr_i32 s17, s16, 31
	s_cmp_eq_u32 s2, 0
	s_load_b128 s[0:3], s[0:1], 0x30
	s_cselect_b32 s15, ttmp9, s15
	s_lshl_b64 s[10:11], s[10:11], 1
	v_lshl_or_b32 v0, s15, 8, v0
	s_delay_alu instid0(VALU_DEP_1) | instskip(NEXT) | instid1(VALU_DEP_1)
	v_lshlrev_b64_e32 v[2:3], 3, v[0:1]
	v_cmp_le_i64_e32 vcc_lo, s[16:17], v[2:3]
	v_lshlrev_b64_e32 v[2:3], 1, v[2:3]
	s_wait_kmcnt 0x0
	s_lshl_b64 s[2:3], s[2:3], 1
	s_xor_b32 s15, vcc_lo, -1
	s_branch .LBB60_3
.LBB60_2:                               ;   in Loop: Header=BB60_3 Depth=1
	s_wait_xcnt 0x0
	s_or_b32 exec_lo, exec_lo, s16
	s_add_co_i32 s12, s12, 0x10000
	s_delay_alu instid0(SALU_CYCLE_1)
	s_cmp_lt_u32 s12, s14
	s_cbranch_scc0 .LBB60_5
.LBB60_3:                               ; =>This Inner Loop Header: Depth=1
	s_mul_u64 s[16:17], s[6:7], s[12:13]
	s_delay_alu instid0(SALU_CYCLE_1) | instskip(NEXT) | instid1(SALU_CYCLE_1)
	s_lshl_b64 s[16:17], s[16:17], 1
	s_add_nc_u64 s[16:17], s[4:5], s[16:17]
	global_load_u16 v0, v1, s[16:17]
	s_wait_loadcnt 0x0
	s_wait_xcnt 0x0
	v_readfirstlane_b32 s16, v0
	s_pack_ll_b32_b16 s16, s16, s16
	s_delay_alu instid0(SALU_CYCLE_1) | instskip(NEXT) | instid1(SALU_CYCLE_1)
	s_and_b32 s16, s16, 0x7fff
	s_cmp_lg_u32 s16, 0
	s_cselect_b32 s16, -1, 0
	s_delay_alu instid0(SALU_CYCLE_1) | instskip(NEXT) | instid1(SALU_CYCLE_1)
	s_and_b32 s17, s16, s15
	s_and_saveexec_b32 s16, s17
	s_cbranch_execz .LBB60_2
; %bb.4:                                ;   in Loop: Header=BB60_3 Depth=1
	s_lshl_b64 s[18:19], s[12:13], 3
	s_delay_alu instid0(SALU_CYCLE_1)
	s_add_nc_u64 s[20:21], s[0:1], s[18:19]
	s_add_nc_u64 s[18:19], s[8:9], s[18:19]
	s_clause 0x1
	global_load_b64 v[4:5], v1, s[20:21]
	global_load_b64 v[6:7], v1, s[18:19]
	s_wait_loadcnt 0x1
	v_add_nc_u64_e32 v[4:5], s[2:3], v[4:5]
	s_wait_loadcnt 0x0
	v_add_nc_u64_e32 v[6:7], s[10:11], v[6:7]
	s_delay_alu instid0(VALU_DEP_2) | instskip(NEXT) | instid1(VALU_DEP_2)
	v_add_nc_u64_e32 v[12:13], v[4:5], v[2:3]
	v_add_nc_u64_e32 v[14:15], v[6:7], v[2:3]
	flat_load_b128 v[4:7], v[12:13]
	flat_load_b128 v[8:11], v[14:15]
	s_wait_loadcnt_dscnt 0x0
	v_pk_fma_f16 v7, v0, v11, v7 op_sel_hi:[0,1,1]
	v_pk_fma_f16 v6, v0, v10, v6 op_sel_hi:[0,1,1]
	;; [unrolled: 1-line block ×4, first 2 shown]
	flat_store_b128 v[12:13], v[4:7]
	s_branch .LBB60_2
.LBB60_5:
	s_endpgm
	.section	.rodata,"a",@progbits
	.p2align	6, 0x0
	.amdhsa_kernel _ZL26rocblas_haxpy_mlt_8_kernelILi256EPKDF16_PKS1_PKPDF16_EviT0_lT1_llT2_lli
		.amdhsa_group_segment_fixed_size 0
		.amdhsa_private_segment_fixed_size 0
		.amdhsa_kernarg_size 76
		.amdhsa_user_sgpr_count 2
		.amdhsa_user_sgpr_dispatch_ptr 0
		.amdhsa_user_sgpr_queue_ptr 0
		.amdhsa_user_sgpr_kernarg_segment_ptr 1
		.amdhsa_user_sgpr_dispatch_id 0
		.amdhsa_user_sgpr_kernarg_preload_length 0
		.amdhsa_user_sgpr_kernarg_preload_offset 0
		.amdhsa_user_sgpr_private_segment_size 0
		.amdhsa_wavefront_size32 1
		.amdhsa_uses_dynamic_stack 0
		.amdhsa_enable_private_segment 0
		.amdhsa_system_sgpr_workgroup_id_x 1
		.amdhsa_system_sgpr_workgroup_id_y 0
		.amdhsa_system_sgpr_workgroup_id_z 1
		.amdhsa_system_sgpr_workgroup_info 0
		.amdhsa_system_vgpr_workitem_id 0
		.amdhsa_next_free_vgpr 16
		.amdhsa_next_free_sgpr 22
		.amdhsa_named_barrier_count 0
		.amdhsa_reserve_vcc 1
		.amdhsa_float_round_mode_32 0
		.amdhsa_float_round_mode_16_64 0
		.amdhsa_float_denorm_mode_32 3
		.amdhsa_float_denorm_mode_16_64 3
		.amdhsa_fp16_overflow 0
		.amdhsa_memory_ordered 1
		.amdhsa_forward_progress 1
		.amdhsa_inst_pref_size 4
		.amdhsa_round_robin_scheduling 0
		.amdhsa_exception_fp_ieee_invalid_op 0
		.amdhsa_exception_fp_denorm_src 0
		.amdhsa_exception_fp_ieee_div_zero 0
		.amdhsa_exception_fp_ieee_overflow 0
		.amdhsa_exception_fp_ieee_underflow 0
		.amdhsa_exception_fp_ieee_inexact 0
		.amdhsa_exception_int_div_zero 0
	.end_amdhsa_kernel
	.section	.text._ZL26rocblas_haxpy_mlt_8_kernelILi256EPKDF16_PKS1_PKPDF16_EviT0_lT1_llT2_lli,"axG",@progbits,_ZL26rocblas_haxpy_mlt_8_kernelILi256EPKDF16_PKS1_PKPDF16_EviT0_lT1_llT2_lli,comdat
.Lfunc_end60:
	.size	_ZL26rocblas_haxpy_mlt_8_kernelILi256EPKDF16_PKS1_PKPDF16_EviT0_lT1_llT2_lli, .Lfunc_end60-_ZL26rocblas_haxpy_mlt_8_kernelILi256EPKDF16_PKS1_PKPDF16_EviT0_lT1_llT2_lli
                                        ; -- End function
	.set _ZL26rocblas_haxpy_mlt_8_kernelILi256EPKDF16_PKS1_PKPDF16_EviT0_lT1_llT2_lli.num_vgpr, 16
	.set _ZL26rocblas_haxpy_mlt_8_kernelILi256EPKDF16_PKS1_PKPDF16_EviT0_lT1_llT2_lli.num_agpr, 0
	.set _ZL26rocblas_haxpy_mlt_8_kernelILi256EPKDF16_PKS1_PKPDF16_EviT0_lT1_llT2_lli.numbered_sgpr, 22
	.set _ZL26rocblas_haxpy_mlt_8_kernelILi256EPKDF16_PKS1_PKPDF16_EviT0_lT1_llT2_lli.num_named_barrier, 0
	.set _ZL26rocblas_haxpy_mlt_8_kernelILi256EPKDF16_PKS1_PKPDF16_EviT0_lT1_llT2_lli.private_seg_size, 0
	.set _ZL26rocblas_haxpy_mlt_8_kernelILi256EPKDF16_PKS1_PKPDF16_EviT0_lT1_llT2_lli.uses_vcc, 1
	.set _ZL26rocblas_haxpy_mlt_8_kernelILi256EPKDF16_PKS1_PKPDF16_EviT0_lT1_llT2_lli.uses_flat_scratch, 0
	.set _ZL26rocblas_haxpy_mlt_8_kernelILi256EPKDF16_PKS1_PKPDF16_EviT0_lT1_llT2_lli.has_dyn_sized_stack, 0
	.set _ZL26rocblas_haxpy_mlt_8_kernelILi256EPKDF16_PKS1_PKPDF16_EviT0_lT1_llT2_lli.has_recursion, 0
	.set _ZL26rocblas_haxpy_mlt_8_kernelILi256EPKDF16_PKS1_PKPDF16_EviT0_lT1_llT2_lli.has_indirect_call, 0
	.section	.AMDGPU.csdata,"",@progbits
; Kernel info:
; codeLenInByte = 440
; TotalNumSgprs: 24
; NumVgprs: 16
; ScratchSize: 0
; MemoryBound: 1
; FloatMode: 240
; IeeeMode: 1
; LDSByteSize: 0 bytes/workgroup (compile time only)
; SGPRBlocks: 0
; VGPRBlocks: 0
; NumSGPRsForWavesPerEU: 24
; NumVGPRsForWavesPerEU: 16
; NamedBarCnt: 0
; Occupancy: 16
; WaveLimiterHint : 1
; COMPUTE_PGM_RSRC2:SCRATCH_EN: 0
; COMPUTE_PGM_RSRC2:USER_SGPR: 2
; COMPUTE_PGM_RSRC2:TRAP_HANDLER: 0
; COMPUTE_PGM_RSRC2:TGID_X_EN: 1
; COMPUTE_PGM_RSRC2:TGID_Y_EN: 0
; COMPUTE_PGM_RSRC2:TGID_Z_EN: 1
; COMPUTE_PGM_RSRC2:TIDIG_COMP_CNT: 0
	.section	.text._ZL26rocblas_haxpy_mod_8_kernelILi256EPKDF16_PKS1_PKPDF16_EviT0_lT1_llT2_lli,"axG",@progbits,_ZL26rocblas_haxpy_mod_8_kernelILi256EPKDF16_PKS1_PKPDF16_EviT0_lT1_llT2_lli,comdat
	.globl	_ZL26rocblas_haxpy_mod_8_kernelILi256EPKDF16_PKS1_PKPDF16_EviT0_lT1_llT2_lli ; -- Begin function _ZL26rocblas_haxpy_mod_8_kernelILi256EPKDF16_PKS1_PKPDF16_EviT0_lT1_llT2_lli
	.p2align	8
	.type	_ZL26rocblas_haxpy_mod_8_kernelILi256EPKDF16_PKS1_PKPDF16_EviT0_lT1_llT2_lli,@function
_ZL26rocblas_haxpy_mod_8_kernelILi256EPKDF16_PKS1_PKPDF16_EviT0_lT1_llT2_lli: ; @_ZL26rocblas_haxpy_mod_8_kernelILi256EPKDF16_PKS1_PKPDF16_EviT0_lT1_llT2_lli
; %bb.0:
	s_load_b32 s14, s[0:1], 0x48
	s_bfe_u32 s2, ttmp6, 0x40014
	s_lshr_b32 s3, ttmp7, 16
	s_add_co_i32 s2, s2, 1
	s_bfe_u32 s4, ttmp6, 0x40008
	s_mul_i32 s2, s3, s2
	s_getreg_b32 s15, hwreg(HW_REG_IB_STS2, 6, 4)
	s_add_co_i32 s4, s4, s2
	s_cmp_eq_u32 s15, 0
	s_mov_b32 s13, 0
	s_cselect_b32 s12, s3, s4
	s_wait_kmcnt 0x0
	s_cmp_ge_u32 s12, s14
	s_cbranch_scc1 .LBB61_5
; %bb.1:
	s_clause 0x1
	s_load_b32 s16, s[0:1], 0x0
	s_load_b256 s[4:11], s[0:1], 0x8
	s_bfe_u32 s17, ttmp6, 0x4000c
	s_wait_xcnt 0x0
	s_load_b128 s[0:3], s[0:1], 0x30
	s_add_co_i32 s17, s17, 1
	s_and_b32 s18, ttmp6, 15
	s_mul_i32 s17, ttmp9, s17
	v_mov_b32_e32 v1, 0
	s_add_co_i32 s18, s18, s17
	s_wait_kmcnt 0x0
	s_ashr_i32 s17, s16, 31
	s_cmp_eq_u32 s15, 0
	s_cselect_b32 s15, ttmp9, s18
	s_lshl_b64 s[10:11], s[10:11], 1
	v_lshl_or_b32 v0, s15, 8, v0
	s_lshl_b64 s[2:3], s[2:3], 1
	s_delay_alu instid0(VALU_DEP_1)
	v_lshlrev_b64_e32 v[2:3], 1, v[0:1]
	v_cmp_gt_i64_e32 vcc_lo, s[16:17], v[0:1]
	s_branch .LBB61_3
.LBB61_2:                               ;   in Loop: Header=BB61_3 Depth=1
	s_wait_xcnt 0x0
	s_or_b32 exec_lo, exec_lo, s15
	s_add_co_i32 s12, s12, 0x10000
	s_delay_alu instid0(SALU_CYCLE_1)
	s_cmp_lt_u32 s12, s14
	s_cbranch_scc0 .LBB61_5
.LBB61_3:                               ; =>This Inner Loop Header: Depth=1
	s_mul_u64 s[16:17], s[6:7], s[12:13]
	s_delay_alu instid0(SALU_CYCLE_1) | instskip(NEXT) | instid1(SALU_CYCLE_1)
	s_lshl_b64 s[16:17], s[16:17], 1
	s_add_nc_u64 s[16:17], s[4:5], s[16:17]
	global_load_u16 v0, v1, s[16:17]
	s_wait_loadcnt 0x0
	v_readfirstlane_b32 s15, v0
	s_cmp_neq_f16 s15, 0
	s_cselect_b32 s15, -1, 0
	s_wait_xcnt 0x0
	s_and_b32 s16, vcc_lo, s15
	s_delay_alu instid0(SALU_CYCLE_1)
	s_and_saveexec_b32 s15, s16
	s_cbranch_execz .LBB61_2
; %bb.4:                                ;   in Loop: Header=BB61_3 Depth=1
	s_lshl_b64 s[16:17], s[12:13], 3
	s_delay_alu instid0(SALU_CYCLE_1)
	s_add_nc_u64 s[18:19], s[8:9], s[16:17]
	s_add_nc_u64 s[16:17], s[0:1], s[16:17]
	s_load_b64 s[20:21], s[18:19], 0x0
	s_load_b64 s[22:23], s[16:17], 0x0
	s_wait_kmcnt 0x0
	s_wait_xcnt 0x0
	s_add_nc_u64 s[16:17], s[20:21], s[10:11]
	s_add_nc_u64 s[18:19], s[22:23], s[2:3]
	v_add_nc_u64_e32 v[4:5], s[16:17], v[2:3]
	v_add_nc_u64_e32 v[6:7], s[18:19], v[2:3]
	flat_load_u16 v8, v[4:5]
	flat_load_u16 v9, v[6:7]
	s_wait_loadcnt_dscnt 0x0
	v_fmac_f16_e32 v9, v0, v8
	flat_store_b16 v[6:7], v9
	s_branch .LBB61_2
.LBB61_5:
	s_endpgm
	.section	.rodata,"a",@progbits
	.p2align	6, 0x0
	.amdhsa_kernel _ZL26rocblas_haxpy_mod_8_kernelILi256EPKDF16_PKS1_PKPDF16_EviT0_lT1_llT2_lli
		.amdhsa_group_segment_fixed_size 0
		.amdhsa_private_segment_fixed_size 0
		.amdhsa_kernarg_size 76
		.amdhsa_user_sgpr_count 2
		.amdhsa_user_sgpr_dispatch_ptr 0
		.amdhsa_user_sgpr_queue_ptr 0
		.amdhsa_user_sgpr_kernarg_segment_ptr 1
		.amdhsa_user_sgpr_dispatch_id 0
		.amdhsa_user_sgpr_kernarg_preload_length 0
		.amdhsa_user_sgpr_kernarg_preload_offset 0
		.amdhsa_user_sgpr_private_segment_size 0
		.amdhsa_wavefront_size32 1
		.amdhsa_uses_dynamic_stack 0
		.amdhsa_enable_private_segment 0
		.amdhsa_system_sgpr_workgroup_id_x 1
		.amdhsa_system_sgpr_workgroup_id_y 0
		.amdhsa_system_sgpr_workgroup_id_z 1
		.amdhsa_system_sgpr_workgroup_info 0
		.amdhsa_system_vgpr_workitem_id 0
		.amdhsa_next_free_vgpr 10
		.amdhsa_next_free_sgpr 24
		.amdhsa_named_barrier_count 0
		.amdhsa_reserve_vcc 1
		.amdhsa_float_round_mode_32 0
		.amdhsa_float_round_mode_16_64 0
		.amdhsa_float_denorm_mode_32 3
		.amdhsa_float_denorm_mode_16_64 3
		.amdhsa_fp16_overflow 0
		.amdhsa_memory_ordered 1
		.amdhsa_forward_progress 1
		.amdhsa_inst_pref_size 3
		.amdhsa_round_robin_scheduling 0
		.amdhsa_exception_fp_ieee_invalid_op 0
		.amdhsa_exception_fp_denorm_src 0
		.amdhsa_exception_fp_ieee_div_zero 0
		.amdhsa_exception_fp_ieee_overflow 0
		.amdhsa_exception_fp_ieee_underflow 0
		.amdhsa_exception_fp_ieee_inexact 0
		.amdhsa_exception_int_div_zero 0
	.end_amdhsa_kernel
	.section	.text._ZL26rocblas_haxpy_mod_8_kernelILi256EPKDF16_PKS1_PKPDF16_EviT0_lT1_llT2_lli,"axG",@progbits,_ZL26rocblas_haxpy_mod_8_kernelILi256EPKDF16_PKS1_PKPDF16_EviT0_lT1_llT2_lli,comdat
.Lfunc_end61:
	.size	_ZL26rocblas_haxpy_mod_8_kernelILi256EPKDF16_PKS1_PKPDF16_EviT0_lT1_llT2_lli, .Lfunc_end61-_ZL26rocblas_haxpy_mod_8_kernelILi256EPKDF16_PKS1_PKPDF16_EviT0_lT1_llT2_lli
                                        ; -- End function
	.set _ZL26rocblas_haxpy_mod_8_kernelILi256EPKDF16_PKS1_PKPDF16_EviT0_lT1_llT2_lli.num_vgpr, 10
	.set _ZL26rocblas_haxpy_mod_8_kernelILi256EPKDF16_PKS1_PKPDF16_EviT0_lT1_llT2_lli.num_agpr, 0
	.set _ZL26rocblas_haxpy_mod_8_kernelILi256EPKDF16_PKS1_PKPDF16_EviT0_lT1_llT2_lli.numbered_sgpr, 24
	.set _ZL26rocblas_haxpy_mod_8_kernelILi256EPKDF16_PKS1_PKPDF16_EviT0_lT1_llT2_lli.num_named_barrier, 0
	.set _ZL26rocblas_haxpy_mod_8_kernelILi256EPKDF16_PKS1_PKPDF16_EviT0_lT1_llT2_lli.private_seg_size, 0
	.set _ZL26rocblas_haxpy_mod_8_kernelILi256EPKDF16_PKS1_PKPDF16_EviT0_lT1_llT2_lli.uses_vcc, 1
	.set _ZL26rocblas_haxpy_mod_8_kernelILi256EPKDF16_PKS1_PKPDF16_EviT0_lT1_llT2_lli.uses_flat_scratch, 0
	.set _ZL26rocblas_haxpy_mod_8_kernelILi256EPKDF16_PKS1_PKPDF16_EviT0_lT1_llT2_lli.has_dyn_sized_stack, 0
	.set _ZL26rocblas_haxpy_mod_8_kernelILi256EPKDF16_PKS1_PKPDF16_EviT0_lT1_llT2_lli.has_recursion, 0
	.set _ZL26rocblas_haxpy_mod_8_kernelILi256EPKDF16_PKS1_PKPDF16_EviT0_lT1_llT2_lli.has_indirect_call, 0
	.section	.AMDGPU.csdata,"",@progbits
; Kernel info:
; codeLenInByte = 376
; TotalNumSgprs: 26
; NumVgprs: 10
; ScratchSize: 0
; MemoryBound: 0
; FloatMode: 240
; IeeeMode: 1
; LDSByteSize: 0 bytes/workgroup (compile time only)
; SGPRBlocks: 0
; VGPRBlocks: 0
; NumSGPRsForWavesPerEU: 26
; NumVGPRsForWavesPerEU: 10
; NamedBarCnt: 0
; Occupancy: 16
; WaveLimiterHint : 1
; COMPUTE_PGM_RSRC2:SCRATCH_EN: 0
; COMPUTE_PGM_RSRC2:USER_SGPR: 2
; COMPUTE_PGM_RSRC2:TRAP_HANDLER: 0
; COMPUTE_PGM_RSRC2:TGID_X_EN: 1
; COMPUTE_PGM_RSRC2:TGID_Y_EN: 0
; COMPUTE_PGM_RSRC2:TGID_Z_EN: 1
; COMPUTE_PGM_RSRC2:TIDIG_COMP_CNT: 0
	.section	.text._ZL26rocblas_haxpy_mlt_8_kernelILi256EDF16_PKPKDF16_PKPDF16_EviT0_lT1_llT2_lli,"axG",@progbits,_ZL26rocblas_haxpy_mlt_8_kernelILi256EDF16_PKPKDF16_PKPDF16_EviT0_lT1_llT2_lli,comdat
	.globl	_ZL26rocblas_haxpy_mlt_8_kernelILi256EDF16_PKPKDF16_PKPDF16_EviT0_lT1_llT2_lli ; -- Begin function _ZL26rocblas_haxpy_mlt_8_kernelILi256EDF16_PKPKDF16_PKPDF16_EviT0_lT1_llT2_lli
	.p2align	8
	.type	_ZL26rocblas_haxpy_mlt_8_kernelILi256EDF16_PKPKDF16_PKPDF16_EviT0_lT1_llT2_lli,@function
_ZL26rocblas_haxpy_mlt_8_kernelILi256EDF16_PKPKDF16_PKPDF16_EviT0_lT1_llT2_lli: ; @_ZL26rocblas_haxpy_mlt_8_kernelILi256EDF16_PKPKDF16_PKPDF16_EviT0_lT1_llT2_lli
; %bb.0:
	s_load_b32 s12, s[0:1], 0x40
	s_bfe_u32 s2, ttmp6, 0x40014
	s_lshr_b32 s3, ttmp7, 16
	s_add_co_i32 s2, s2, 1
	s_bfe_u32 s5, ttmp6, 0x40008
	s_mul_i32 s4, s3, s2
	s_getreg_b32 s2, hwreg(HW_REG_IB_STS2, 6, 4)
	s_add_co_i32 s5, s5, s4
	s_cmp_eq_u32 s2, 0
	s_cselect_b32 s13, s3, s5
	s_wait_kmcnt 0x0
	s_cmp_ge_u32 s13, s12
	s_cbranch_scc1 .LBB62_5
; %bb.1:
	s_load_b64 s[16:17], s[0:1], 0x0
	s_bfe_u32 s3, ttmp6, 0x4000c
	s_and_b32 s4, ttmp6, 15
	s_add_co_i32 s3, s3, 1
	s_load_b128 s[8:11], s[0:1], 0x28
	s_mul_i32 s3, ttmp9, s3
	v_mov_b32_e32 v1, 0
	s_add_co_i32 s3, s4, s3
	s_cmp_eq_u32 s2, 0
	s_load_b128 s[4:7], s[0:1], 0x10
	s_cselect_b32 s2, ttmp9, s3
	s_delay_alu instid0(SALU_CYCLE_1) | instskip(NEXT) | instid1(VALU_DEP_1)
	v_lshl_or_b32 v0, s2, 8, v0
	v_lshlrev_b64_e32 v[0:1], 3, v[0:1]
	s_wait_kmcnt 0x0
	s_pack_ll_b32_b16 s14, s17, s17
	s_delay_alu instid0(SALU_CYCLE_1) | instskip(SKIP_4) | instid1(SALU_CYCLE_1)
	s_and_b32 s0, s14, 0x7fff
	s_mov_b32 s15, s14
	s_cmp_lg_u32 s0, 0
	s_cselect_b32 s2, -1, 0
	s_ashr_i32 s17, s16, 31
	v_cmp_gt_i64_e32 vcc_lo, s[16:17], v[0:1]
	v_lshlrev_b64_e32 v[0:1], 1, v[0:1]
	s_mov_b32 s16, s14
	s_mov_b32 s17, s14
	s_lshl_b64 s[0:1], s[6:7], 1
	s_and_b32 s6, s2, vcc_lo
	s_lshl_b64 s[2:3], s[10:11], 1
	s_branch .LBB62_3
.LBB62_2:                               ;   in Loop: Header=BB62_3 Depth=1
	s_wait_xcnt 0x0
	s_or_b32 exec_lo, exec_lo, s7
	s_add_co_i32 s13, s13, 0x10000
	s_delay_alu instid0(SALU_CYCLE_1)
	s_cmp_lt_u32 s13, s12
	s_cbranch_scc0 .LBB62_5
.LBB62_3:                               ; =>This Inner Loop Header: Depth=1
	s_and_saveexec_b32 s7, s6
	s_cbranch_execz .LBB62_2
; %bb.4:                                ;   in Loop: Header=BB62_3 Depth=1
	v_mov_b32_e32 v6, s13
	s_clause 0x1
	global_load_b64 v[2:3], v6, s[8:9] scale_offset
	global_load_b64 v[4:5], v6, s[4:5] scale_offset
	s_wait_loadcnt 0x1
	v_add_nc_u64_e32 v[2:3], s[2:3], v[2:3]
	s_wait_loadcnt 0x0
	v_add_nc_u64_e32 v[4:5], s[0:1], v[4:5]
	s_delay_alu instid0(VALU_DEP_2) | instskip(NEXT) | instid1(VALU_DEP_2)
	v_add_nc_u64_e32 v[10:11], v[2:3], v[0:1]
	v_add_nc_u64_e32 v[12:13], v[4:5], v[0:1]
	flat_load_b128 v[2:5], v[10:11]
	flat_load_b128 v[6:9], v[12:13]
	s_wait_loadcnt_dscnt 0x0
	v_pk_fma_f16 v5, s17, v9, v5
	v_pk_fma_f16 v4, s16, v8, v4
	;; [unrolled: 1-line block ×4, first 2 shown]
	flat_store_b128 v[10:11], v[2:5]
	s_branch .LBB62_2
.LBB62_5:
	s_endpgm
	.section	.rodata,"a",@progbits
	.p2align	6, 0x0
	.amdhsa_kernel _ZL26rocblas_haxpy_mlt_8_kernelILi256EDF16_PKPKDF16_PKPDF16_EviT0_lT1_llT2_lli
		.amdhsa_group_segment_fixed_size 0
		.amdhsa_private_segment_fixed_size 0
		.amdhsa_kernarg_size 68
		.amdhsa_user_sgpr_count 2
		.amdhsa_user_sgpr_dispatch_ptr 0
		.amdhsa_user_sgpr_queue_ptr 0
		.amdhsa_user_sgpr_kernarg_segment_ptr 1
		.amdhsa_user_sgpr_dispatch_id 0
		.amdhsa_user_sgpr_kernarg_preload_length 0
		.amdhsa_user_sgpr_kernarg_preload_offset 0
		.amdhsa_user_sgpr_private_segment_size 0
		.amdhsa_wavefront_size32 1
		.amdhsa_uses_dynamic_stack 0
		.amdhsa_enable_private_segment 0
		.amdhsa_system_sgpr_workgroup_id_x 1
		.amdhsa_system_sgpr_workgroup_id_y 0
		.amdhsa_system_sgpr_workgroup_id_z 1
		.amdhsa_system_sgpr_workgroup_info 0
		.amdhsa_system_vgpr_workitem_id 0
		.amdhsa_next_free_vgpr 14
		.amdhsa_next_free_sgpr 18
		.amdhsa_named_barrier_count 0
		.amdhsa_reserve_vcc 1
		.amdhsa_float_round_mode_32 0
		.amdhsa_float_round_mode_16_64 0
		.amdhsa_float_denorm_mode_32 3
		.amdhsa_float_denorm_mode_16_64 3
		.amdhsa_fp16_overflow 0
		.amdhsa_memory_ordered 1
		.amdhsa_forward_progress 1
		.amdhsa_inst_pref_size 3
		.amdhsa_round_robin_scheduling 0
		.amdhsa_exception_fp_ieee_invalid_op 0
		.amdhsa_exception_fp_denorm_src 0
		.amdhsa_exception_fp_ieee_div_zero 0
		.amdhsa_exception_fp_ieee_overflow 0
		.amdhsa_exception_fp_ieee_underflow 0
		.amdhsa_exception_fp_ieee_inexact 0
		.amdhsa_exception_int_div_zero 0
	.end_amdhsa_kernel
	.section	.text._ZL26rocblas_haxpy_mlt_8_kernelILi256EDF16_PKPKDF16_PKPDF16_EviT0_lT1_llT2_lli,"axG",@progbits,_ZL26rocblas_haxpy_mlt_8_kernelILi256EDF16_PKPKDF16_PKPDF16_EviT0_lT1_llT2_lli,comdat
.Lfunc_end62:
	.size	_ZL26rocblas_haxpy_mlt_8_kernelILi256EDF16_PKPKDF16_PKPDF16_EviT0_lT1_llT2_lli, .Lfunc_end62-_ZL26rocblas_haxpy_mlt_8_kernelILi256EDF16_PKPKDF16_PKPDF16_EviT0_lT1_llT2_lli
                                        ; -- End function
	.set _ZL26rocblas_haxpy_mlt_8_kernelILi256EDF16_PKPKDF16_PKPDF16_EviT0_lT1_llT2_lli.num_vgpr, 14
	.set _ZL26rocblas_haxpy_mlt_8_kernelILi256EDF16_PKPKDF16_PKPDF16_EviT0_lT1_llT2_lli.num_agpr, 0
	.set _ZL26rocblas_haxpy_mlt_8_kernelILi256EDF16_PKPKDF16_PKPDF16_EviT0_lT1_llT2_lli.numbered_sgpr, 18
	.set _ZL26rocblas_haxpy_mlt_8_kernelILi256EDF16_PKPKDF16_PKPDF16_EviT0_lT1_llT2_lli.num_named_barrier, 0
	.set _ZL26rocblas_haxpy_mlt_8_kernelILi256EDF16_PKPKDF16_PKPDF16_EviT0_lT1_llT2_lli.private_seg_size, 0
	.set _ZL26rocblas_haxpy_mlt_8_kernelILi256EDF16_PKPKDF16_PKPDF16_EviT0_lT1_llT2_lli.uses_vcc, 1
	.set _ZL26rocblas_haxpy_mlt_8_kernelILi256EDF16_PKPKDF16_PKPDF16_EviT0_lT1_llT2_lli.uses_flat_scratch, 0
	.set _ZL26rocblas_haxpy_mlt_8_kernelILi256EDF16_PKPKDF16_PKPDF16_EviT0_lT1_llT2_lli.has_dyn_sized_stack, 0
	.set _ZL26rocblas_haxpy_mlt_8_kernelILi256EDF16_PKPKDF16_PKPDF16_EviT0_lT1_llT2_lli.has_recursion, 0
	.set _ZL26rocblas_haxpy_mlt_8_kernelILi256EDF16_PKPKDF16_PKPDF16_EviT0_lT1_llT2_lli.has_indirect_call, 0
	.section	.AMDGPU.csdata,"",@progbits
; Kernel info:
; codeLenInByte = 384
; TotalNumSgprs: 20
; NumVgprs: 14
; ScratchSize: 0
; MemoryBound: 1
; FloatMode: 240
; IeeeMode: 1
; LDSByteSize: 0 bytes/workgroup (compile time only)
; SGPRBlocks: 0
; VGPRBlocks: 0
; NumSGPRsForWavesPerEU: 20
; NumVGPRsForWavesPerEU: 14
; NamedBarCnt: 0
; Occupancy: 16
; WaveLimiterHint : 1
; COMPUTE_PGM_RSRC2:SCRATCH_EN: 0
; COMPUTE_PGM_RSRC2:USER_SGPR: 2
; COMPUTE_PGM_RSRC2:TRAP_HANDLER: 0
; COMPUTE_PGM_RSRC2:TGID_X_EN: 1
; COMPUTE_PGM_RSRC2:TGID_Y_EN: 0
; COMPUTE_PGM_RSRC2:TGID_Z_EN: 1
; COMPUTE_PGM_RSRC2:TIDIG_COMP_CNT: 0
	.section	.text._ZL26rocblas_haxpy_mod_8_kernelILi256EDF16_PKPKDF16_PKPDF16_EviT0_lT1_llT2_lli,"axG",@progbits,_ZL26rocblas_haxpy_mod_8_kernelILi256EDF16_PKPKDF16_PKPDF16_EviT0_lT1_llT2_lli,comdat
	.globl	_ZL26rocblas_haxpy_mod_8_kernelILi256EDF16_PKPKDF16_PKPDF16_EviT0_lT1_llT2_lli ; -- Begin function _ZL26rocblas_haxpy_mod_8_kernelILi256EDF16_PKPKDF16_PKPDF16_EviT0_lT1_llT2_lli
	.p2align	8
	.type	_ZL26rocblas_haxpy_mod_8_kernelILi256EDF16_PKPKDF16_PKPDF16_EviT0_lT1_llT2_lli,@function
_ZL26rocblas_haxpy_mod_8_kernelILi256EDF16_PKPKDF16_PKPDF16_EviT0_lT1_llT2_lli: ; @_ZL26rocblas_haxpy_mod_8_kernelILi256EDF16_PKPKDF16_PKPDF16_EviT0_lT1_llT2_lli
; %bb.0:
	s_load_b32 s12, s[0:1], 0x40
	s_bfe_u32 s2, ttmp6, 0x40014
	s_lshr_b32 s3, ttmp7, 16
	s_add_co_i32 s2, s2, 1
	s_bfe_u32 s4, ttmp6, 0x40008
	s_mul_i32 s2, s3, s2
	s_getreg_b32 s14, hwreg(HW_REG_IB_STS2, 6, 4)
	s_add_co_i32 s4, s4, s2
	s_cmp_eq_u32 s14, 0
	s_cselect_b32 s13, s3, s4
	s_wait_kmcnt 0x0
	s_cmp_ge_u32 s13, s12
	s_cbranch_scc1 .LBB63_5
; %bb.1:
	s_clause 0x1
	s_load_b64 s[2:3], s[0:1], 0x0
	s_load_b128 s[4:7], s[0:1], 0x10
	s_bfe_u32 s8, ttmp6, 0x4000c
	s_and_b32 s15, ttmp6, 15
	s_add_co_i32 s8, s8, 1
	v_mov_b32_e32 v1, 0
	s_mul_i32 s16, ttmp9, s8
	s_load_b128 s[8:11], s[0:1], 0x28
	s_add_co_i32 s15, s15, s16
	s_cmp_eq_u32 s14, 0
	s_wait_xcnt 0x0
	s_cselect_b32 s0, ttmp9, s15
	s_delay_alu instid0(SALU_CYCLE_1)
	v_lshl_or_b32 v0, s0, 8, v0
	s_wait_kmcnt 0x0
	s_cmp_neq_f16 s3, 0
	s_mov_b32 s0, s2
	s_cselect_b32 s14, -1, 0
	s_ashr_i32 s1, s2, 31
	s_delay_alu instid0(SALU_CYCLE_1)
	v_cmp_gt_i64_e32 vcc_lo, s[0:1], v[0:1]
	v_lshlrev_b64_e32 v[0:1], 1, v[0:1]
	s_lshl_b64 s[0:1], s[6:7], 1
	s_lshl_b64 s[6:7], s[10:11], 1
	s_and_b32 s2, s14, vcc_lo
	s_branch .LBB63_3
.LBB63_2:                               ;   in Loop: Header=BB63_3 Depth=1
	s_wait_xcnt 0x0
	s_or_b32 exec_lo, exec_lo, s10
	s_add_co_i32 s13, s13, 0x10000
	s_delay_alu instid0(SALU_CYCLE_1)
	s_cmp_lt_u32 s13, s12
	s_cbranch_scc0 .LBB63_5
.LBB63_3:                               ; =>This Inner Loop Header: Depth=1
	s_and_saveexec_b32 s10, s2
	s_cbranch_execz .LBB63_2
; %bb.4:                                ;   in Loop: Header=BB63_3 Depth=1
	s_load_b64 s[14:15], s[4:5], s13 offset:0x0 scale_offset
	s_load_b64 s[16:17], s[8:9], s13 offset:0x0 scale_offset
	s_wait_kmcnt 0x0
	s_add_nc_u64 s[14:15], s[14:15], s[0:1]
	s_add_nc_u64 s[16:17], s[16:17], s[6:7]
	v_add_nc_u64_e32 v[2:3], s[14:15], v[0:1]
	v_add_nc_u64_e32 v[4:5], s[16:17], v[0:1]
	flat_load_u16 v6, v[2:3]
	flat_load_u16 v7, v[4:5]
	s_wait_loadcnt_dscnt 0x0
	v_fmac_f16_e32 v7, s3, v6
	flat_store_b16 v[4:5], v7
	s_branch .LBB63_2
.LBB63_5:
	s_endpgm
	.section	.rodata,"a",@progbits
	.p2align	6, 0x0
	.amdhsa_kernel _ZL26rocblas_haxpy_mod_8_kernelILi256EDF16_PKPKDF16_PKPDF16_EviT0_lT1_llT2_lli
		.amdhsa_group_segment_fixed_size 0
		.amdhsa_private_segment_fixed_size 0
		.amdhsa_kernarg_size 68
		.amdhsa_user_sgpr_count 2
		.amdhsa_user_sgpr_dispatch_ptr 0
		.amdhsa_user_sgpr_queue_ptr 0
		.amdhsa_user_sgpr_kernarg_segment_ptr 1
		.amdhsa_user_sgpr_dispatch_id 0
		.amdhsa_user_sgpr_kernarg_preload_length 0
		.amdhsa_user_sgpr_kernarg_preload_offset 0
		.amdhsa_user_sgpr_private_segment_size 0
		.amdhsa_wavefront_size32 1
		.amdhsa_uses_dynamic_stack 0
		.amdhsa_enable_private_segment 0
		.amdhsa_system_sgpr_workgroup_id_x 1
		.amdhsa_system_sgpr_workgroup_id_y 0
		.amdhsa_system_sgpr_workgroup_id_z 1
		.amdhsa_system_sgpr_workgroup_info 0
		.amdhsa_system_vgpr_workitem_id 0
		.amdhsa_next_free_vgpr 8
		.amdhsa_next_free_sgpr 18
		.amdhsa_named_barrier_count 0
		.amdhsa_reserve_vcc 1
		.amdhsa_float_round_mode_32 0
		.amdhsa_float_round_mode_16_64 0
		.amdhsa_float_denorm_mode_32 3
		.amdhsa_float_denorm_mode_16_64 3
		.amdhsa_fp16_overflow 0
		.amdhsa_memory_ordered 1
		.amdhsa_forward_progress 1
		.amdhsa_inst_pref_size 3
		.amdhsa_round_robin_scheduling 0
		.amdhsa_exception_fp_ieee_invalid_op 0
		.amdhsa_exception_fp_denorm_src 0
		.amdhsa_exception_fp_ieee_div_zero 0
		.amdhsa_exception_fp_ieee_overflow 0
		.amdhsa_exception_fp_ieee_underflow 0
		.amdhsa_exception_fp_ieee_inexact 0
		.amdhsa_exception_int_div_zero 0
	.end_amdhsa_kernel
	.section	.text._ZL26rocblas_haxpy_mod_8_kernelILi256EDF16_PKPKDF16_PKPDF16_EviT0_lT1_llT2_lli,"axG",@progbits,_ZL26rocblas_haxpy_mod_8_kernelILi256EDF16_PKPKDF16_PKPDF16_EviT0_lT1_llT2_lli,comdat
.Lfunc_end63:
	.size	_ZL26rocblas_haxpy_mod_8_kernelILi256EDF16_PKPKDF16_PKPDF16_EviT0_lT1_llT2_lli, .Lfunc_end63-_ZL26rocblas_haxpy_mod_8_kernelILi256EDF16_PKPKDF16_PKPDF16_EviT0_lT1_llT2_lli
                                        ; -- End function
	.set _ZL26rocblas_haxpy_mod_8_kernelILi256EDF16_PKPKDF16_PKPDF16_EviT0_lT1_llT2_lli.num_vgpr, 8
	.set _ZL26rocblas_haxpy_mod_8_kernelILi256EDF16_PKPKDF16_PKPDF16_EviT0_lT1_llT2_lli.num_agpr, 0
	.set _ZL26rocblas_haxpy_mod_8_kernelILi256EDF16_PKPKDF16_PKPDF16_EviT0_lT1_llT2_lli.numbered_sgpr, 18
	.set _ZL26rocblas_haxpy_mod_8_kernelILi256EDF16_PKPKDF16_PKPDF16_EviT0_lT1_llT2_lli.num_named_barrier, 0
	.set _ZL26rocblas_haxpy_mod_8_kernelILi256EDF16_PKPKDF16_PKPDF16_EviT0_lT1_llT2_lli.private_seg_size, 0
	.set _ZL26rocblas_haxpy_mod_8_kernelILi256EDF16_PKPKDF16_PKPDF16_EviT0_lT1_llT2_lli.uses_vcc, 1
	.set _ZL26rocblas_haxpy_mod_8_kernelILi256EDF16_PKPKDF16_PKPDF16_EviT0_lT1_llT2_lli.uses_flat_scratch, 0
	.set _ZL26rocblas_haxpy_mod_8_kernelILi256EDF16_PKPKDF16_PKPDF16_EviT0_lT1_llT2_lli.has_dyn_sized_stack, 0
	.set _ZL26rocblas_haxpy_mod_8_kernelILi256EDF16_PKPKDF16_PKPDF16_EviT0_lT1_llT2_lli.has_recursion, 0
	.set _ZL26rocblas_haxpy_mod_8_kernelILi256EDF16_PKPKDF16_PKPDF16_EviT0_lT1_llT2_lli.has_indirect_call, 0
	.section	.AMDGPU.csdata,"",@progbits
; Kernel info:
; codeLenInByte = 316
; TotalNumSgprs: 20
; NumVgprs: 8
; ScratchSize: 0
; MemoryBound: 0
; FloatMode: 240
; IeeeMode: 1
; LDSByteSize: 0 bytes/workgroup (compile time only)
; SGPRBlocks: 0
; VGPRBlocks: 0
; NumSGPRsForWavesPerEU: 20
; NumVGPRsForWavesPerEU: 8
; NamedBarCnt: 0
; Occupancy: 16
; WaveLimiterHint : 1
; COMPUTE_PGM_RSRC2:SCRATCH_EN: 0
; COMPUTE_PGM_RSRC2:USER_SGPR: 2
; COMPUTE_PGM_RSRC2:TRAP_HANDLER: 0
; COMPUTE_PGM_RSRC2:TGID_X_EN: 1
; COMPUTE_PGM_RSRC2:TGID_Y_EN: 0
; COMPUTE_PGM_RSRC2:TGID_Z_EN: 1
; COMPUTE_PGM_RSRC2:TIDIG_COMP_CNT: 0
	.section	.text._ZL22rocblas_saxpy_2_kernelILi256EDF16_PKDF16_PKS1_PKPDF16_EviT1_lT2_llT3_lli,"axG",@progbits,_ZL22rocblas_saxpy_2_kernelILi256EDF16_PKDF16_PKS1_PKPDF16_EviT1_lT2_llT3_lli,comdat
	.globl	_ZL22rocblas_saxpy_2_kernelILi256EDF16_PKDF16_PKS1_PKPDF16_EviT1_lT2_llT3_lli ; -- Begin function _ZL22rocblas_saxpy_2_kernelILi256EDF16_PKDF16_PKS1_PKPDF16_EviT1_lT2_llT3_lli
	.p2align	8
	.type	_ZL22rocblas_saxpy_2_kernelILi256EDF16_PKDF16_PKS1_PKPDF16_EviT1_lT2_llT3_lli,@function
_ZL22rocblas_saxpy_2_kernelILi256EDF16_PKDF16_PKS1_PKPDF16_EviT1_lT2_llT3_lli: ; @_ZL22rocblas_saxpy_2_kernelILi256EDF16_PKDF16_PKS1_PKPDF16_EviT1_lT2_llT3_lli
; %bb.0:
	s_load_b32 s16, s[0:1], 0x48
	s_bfe_u32 s2, ttmp6, 0x40014
	s_lshr_b32 s3, ttmp7, 16
	s_add_co_i32 s2, s2, 1
	s_bfe_u32 s4, ttmp6, 0x40008
	s_mul_i32 s2, s3, s2
	s_getreg_b32 s17, hwreg(HW_REG_IB_STS2, 6, 4)
	s_add_co_i32 s4, s4, s2
	s_cmp_eq_u32 s17, 0
	s_cselect_b32 s2, s3, s4
	s_mov_b32 s3, 0
	s_wait_kmcnt 0x0
	s_cmp_ge_u32 s2, s16
	s_cbranch_scc1 .LBB64_9
; %bb.1:
	s_clause 0x1
	s_load_b32 s18, s[0:1], 0x0
	s_load_b256 s[4:11], s[0:1], 0x8
	s_bfe_u32 s19, ttmp6, 0x4000c
	s_load_b128 s[12:15], s[0:1], 0x30
	s_add_co_i32 s19, s19, 1
	s_wait_xcnt 0x0
	s_and_b32 s0, ttmp6, 15
	s_mul_i32 s1, ttmp9, s19
	v_dual_mov_b32 v1, 0 :: v_dual_lshlrev_b32 v0, 1, v0
	s_add_co_i32 s0, s0, s1
	s_cmp_eq_u32 s17, 0
	s_cselect_b32 s0, ttmp9, s0
	s_delay_alu instid0(VALU_DEP_1) | instid1(SALU_CYCLE_1)
	v_lshl_or_b32 v0, s0, 9, v0
	s_delay_alu instid0(VALU_DEP_1) | instskip(SKIP_2) | instid1(SALU_CYCLE_1)
	v_lshlrev_b64_e32 v[2:3], 1, v[0:1]
	s_wait_kmcnt 0x0
	s_add_co_i32 s0, s18, -1
	s_ashr_i32 s1, s0, 31
	s_bitcmp1_b32 s18, 0
	v_cmp_eq_u64_e32 vcc_lo, s[0:1], v[0:1]
	v_cmp_gt_i64_e64 s0, s[0:1], v[0:1]
	s_cselect_b32 s1, -1, 0
	s_lshl_b64 s[10:11], s[10:11], 1
	s_lshl_b64 s[14:15], s[14:15], 1
	s_and_b32 s1, s1, vcc_lo
	s_branch .LBB64_4
.LBB64_2:                               ;   in Loop: Header=BB64_4 Depth=1
	s_wait_xcnt 0x0
	s_or_b32 exec_lo, exec_lo, s17
.LBB64_3:                               ;   in Loop: Header=BB64_4 Depth=1
	s_add_co_i32 s2, s2, 0x10000
	s_delay_alu instid0(SALU_CYCLE_1)
	s_cmp_lt_u32 s2, s16
	s_cbranch_scc0 .LBB64_9
.LBB64_4:                               ; =>This Inner Loop Header: Depth=1
	s_wait_xcnt 0x0
	s_mul_u64 s[18:19], s[6:7], s[2:3]
	s_delay_alu instid0(SALU_CYCLE_1) | instskip(NEXT) | instid1(SALU_CYCLE_1)
	s_lshl_b64 s[18:19], s[18:19], 1
	s_add_nc_u64 s[18:19], s[4:5], s[18:19]
	global_load_u16 v0, v1, s[18:19]
	s_wait_loadcnt 0x0
	v_cmp_eq_f16_e32 vcc_lo, 0, v0
	s_cbranch_vccnz .LBB64_3
; %bb.5:                                ;   in Loop: Header=BB64_4 Depth=1
	s_wait_xcnt 0x0
	s_lshl_b64 s[18:19], s[2:3], 3
	s_delay_alu instid0(SALU_CYCLE_1)
	s_add_nc_u64 s[20:21], s[12:13], s[18:19]
	s_add_nc_u64 s[18:19], s[8:9], s[18:19]
	s_load_b64 s[22:23], s[20:21], 0x0
	s_load_b64 s[24:25], s[18:19], 0x0
	s_wait_kmcnt 0x0
	s_wait_xcnt 0x0
	s_add_nc_u64 s[18:19], s[22:23], s[14:15]
	s_add_nc_u64 s[20:21], s[24:25], s[10:11]
	v_add_nc_u64_e32 v[4:5], s[18:19], v[2:3]
	v_add_nc_u64_e32 v[6:7], s[20:21], v[2:3]
	s_and_saveexec_b32 s17, s0
	s_cbranch_execz .LBB64_7
; %bb.6:                                ;   in Loop: Header=BB64_4 Depth=1
	flat_load_b32 v8, v[4:5]
	flat_load_u16 v9, v[6:7]
	s_wait_loadcnt_dscnt 0x101
	v_lshrrev_b32_e32 v10, 16, v8
	s_wait_loadcnt_dscnt 0x0
	v_fmac_f16_e32 v8, v0, v9
	flat_store_b16 v[4:5], v8
	flat_load_u16 v8, v[6:7] offset:2
	s_wait_loadcnt_dscnt 0x0
	v_fmac_f16_e32 v10, v0, v8
	flat_store_b16 v[4:5], v10 offset:2
.LBB64_7:                               ;   in Loop: Header=BB64_4 Depth=1
	s_wait_xcnt 0x0
	s_or_b32 exec_lo, exec_lo, s17
	s_and_saveexec_b32 s17, s1
	s_cbranch_execz .LBB64_2
; %bb.8:                                ;   in Loop: Header=BB64_4 Depth=1
	flat_load_u16 v8, v[4:5]
	flat_load_u16 v9, v[6:7]
	s_wait_loadcnt_dscnt 0x0
	v_fmac_f16_e32 v8, v0, v9
	flat_store_b16 v[4:5], v8
	s_branch .LBB64_2
.LBB64_9:
	s_endpgm
	.section	.rodata,"a",@progbits
	.p2align	6, 0x0
	.amdhsa_kernel _ZL22rocblas_saxpy_2_kernelILi256EDF16_PKDF16_PKS1_PKPDF16_EviT1_lT2_llT3_lli
		.amdhsa_group_segment_fixed_size 0
		.amdhsa_private_segment_fixed_size 0
		.amdhsa_kernarg_size 76
		.amdhsa_user_sgpr_count 2
		.amdhsa_user_sgpr_dispatch_ptr 0
		.amdhsa_user_sgpr_queue_ptr 0
		.amdhsa_user_sgpr_kernarg_segment_ptr 1
		.amdhsa_user_sgpr_dispatch_id 0
		.amdhsa_user_sgpr_kernarg_preload_length 0
		.amdhsa_user_sgpr_kernarg_preload_offset 0
		.amdhsa_user_sgpr_private_segment_size 0
		.amdhsa_wavefront_size32 1
		.amdhsa_uses_dynamic_stack 0
		.amdhsa_enable_private_segment 0
		.amdhsa_system_sgpr_workgroup_id_x 1
		.amdhsa_system_sgpr_workgroup_id_y 0
		.amdhsa_system_sgpr_workgroup_id_z 1
		.amdhsa_system_sgpr_workgroup_info 0
		.amdhsa_system_vgpr_workitem_id 0
		.amdhsa_next_free_vgpr 11
		.amdhsa_next_free_sgpr 26
		.amdhsa_named_barrier_count 0
		.amdhsa_reserve_vcc 1
		.amdhsa_float_round_mode_32 0
		.amdhsa_float_round_mode_16_64 0
		.amdhsa_float_denorm_mode_32 3
		.amdhsa_float_denorm_mode_16_64 3
		.amdhsa_fp16_overflow 0
		.amdhsa_memory_ordered 1
		.amdhsa_forward_progress 1
		.amdhsa_inst_pref_size 4
		.amdhsa_round_robin_scheduling 0
		.amdhsa_exception_fp_ieee_invalid_op 0
		.amdhsa_exception_fp_denorm_src 0
		.amdhsa_exception_fp_ieee_div_zero 0
		.amdhsa_exception_fp_ieee_overflow 0
		.amdhsa_exception_fp_ieee_underflow 0
		.amdhsa_exception_fp_ieee_inexact 0
		.amdhsa_exception_int_div_zero 0
	.end_amdhsa_kernel
	.section	.text._ZL22rocblas_saxpy_2_kernelILi256EDF16_PKDF16_PKS1_PKPDF16_EviT1_lT2_llT3_lli,"axG",@progbits,_ZL22rocblas_saxpy_2_kernelILi256EDF16_PKDF16_PKS1_PKPDF16_EviT1_lT2_llT3_lli,comdat
.Lfunc_end64:
	.size	_ZL22rocblas_saxpy_2_kernelILi256EDF16_PKDF16_PKS1_PKPDF16_EviT1_lT2_llT3_lli, .Lfunc_end64-_ZL22rocblas_saxpy_2_kernelILi256EDF16_PKDF16_PKS1_PKPDF16_EviT1_lT2_llT3_lli
                                        ; -- End function
	.set _ZL22rocblas_saxpy_2_kernelILi256EDF16_PKDF16_PKS1_PKPDF16_EviT1_lT2_llT3_lli.num_vgpr, 11
	.set _ZL22rocblas_saxpy_2_kernelILi256EDF16_PKDF16_PKS1_PKPDF16_EviT1_lT2_llT3_lli.num_agpr, 0
	.set _ZL22rocblas_saxpy_2_kernelILi256EDF16_PKDF16_PKS1_PKPDF16_EviT1_lT2_llT3_lli.numbered_sgpr, 26
	.set _ZL22rocblas_saxpy_2_kernelILi256EDF16_PKDF16_PKS1_PKPDF16_EviT1_lT2_llT3_lli.num_named_barrier, 0
	.set _ZL22rocblas_saxpy_2_kernelILi256EDF16_PKDF16_PKS1_PKPDF16_EviT1_lT2_llT3_lli.private_seg_size, 0
	.set _ZL22rocblas_saxpy_2_kernelILi256EDF16_PKDF16_PKS1_PKPDF16_EviT1_lT2_llT3_lli.uses_vcc, 1
	.set _ZL22rocblas_saxpy_2_kernelILi256EDF16_PKDF16_PKS1_PKPDF16_EviT1_lT2_llT3_lli.uses_flat_scratch, 0
	.set _ZL22rocblas_saxpy_2_kernelILi256EDF16_PKDF16_PKS1_PKPDF16_EviT1_lT2_llT3_lli.has_dyn_sized_stack, 0
	.set _ZL22rocblas_saxpy_2_kernelILi256EDF16_PKDF16_PKS1_PKPDF16_EviT1_lT2_llT3_lli.has_recursion, 0
	.set _ZL22rocblas_saxpy_2_kernelILi256EDF16_PKDF16_PKS1_PKPDF16_EviT1_lT2_llT3_lli.has_indirect_call, 0
	.section	.AMDGPU.csdata,"",@progbits
; Kernel info:
; codeLenInByte = 500
; TotalNumSgprs: 28
; NumVgprs: 11
; ScratchSize: 0
; MemoryBound: 0
; FloatMode: 240
; IeeeMode: 1
; LDSByteSize: 0 bytes/workgroup (compile time only)
; SGPRBlocks: 0
; VGPRBlocks: 0
; NumSGPRsForWavesPerEU: 28
; NumVGPRsForWavesPerEU: 11
; NamedBarCnt: 0
; Occupancy: 16
; WaveLimiterHint : 1
; COMPUTE_PGM_RSRC2:SCRATCH_EN: 0
; COMPUTE_PGM_RSRC2:USER_SGPR: 2
; COMPUTE_PGM_RSRC2:TRAP_HANDLER: 0
; COMPUTE_PGM_RSRC2:TGID_X_EN: 1
; COMPUTE_PGM_RSRC2:TGID_Y_EN: 0
; COMPUTE_PGM_RSRC2:TGID_Z_EN: 1
; COMPUTE_PGM_RSRC2:TIDIG_COMP_CNT: 0
	.section	.text._ZL22rocblas_saxpy_2_kernelILi256EDF16_DF16_PKPKDF16_PKPDF16_EviT1_lT2_llT3_lli,"axG",@progbits,_ZL22rocblas_saxpy_2_kernelILi256EDF16_DF16_PKPKDF16_PKPDF16_EviT1_lT2_llT3_lli,comdat
	.globl	_ZL22rocblas_saxpy_2_kernelILi256EDF16_DF16_PKPKDF16_PKPDF16_EviT1_lT2_llT3_lli ; -- Begin function _ZL22rocblas_saxpy_2_kernelILi256EDF16_DF16_PKPKDF16_PKPDF16_EviT1_lT2_llT3_lli
	.p2align	8
	.type	_ZL22rocblas_saxpy_2_kernelILi256EDF16_DF16_PKPKDF16_PKPDF16_EviT1_lT2_llT3_lli,@function
_ZL22rocblas_saxpy_2_kernelILi256EDF16_DF16_PKPKDF16_PKPDF16_EviT1_lT2_llT3_lli: ; @_ZL22rocblas_saxpy_2_kernelILi256EDF16_DF16_PKPKDF16_PKPDF16_EviT1_lT2_llT3_lli
; %bb.0:
	s_load_b32 s12, s[0:1], 0x40
	s_bfe_u32 s2, ttmp6, 0x40014
	s_lshr_b32 s3, ttmp7, 16
	s_add_co_i32 s2, s2, 1
	s_bfe_u32 s4, ttmp6, 0x40008
	s_mul_i32 s2, s3, s2
	s_getreg_b32 s14, hwreg(HW_REG_IB_STS2, 6, 4)
	s_add_co_i32 s4, s4, s2
	s_cmp_eq_u32 s14, 0
	s_cselect_b32 s13, s3, s4
	s_wait_kmcnt 0x0
	s_cmp_ge_u32 s13, s12
	s_cbranch_scc1 .LBB65_9
; %bb.1:
	s_clause 0x1
	s_load_b64 s[2:3], s[0:1], 0x0
	s_load_b128 s[4:7], s[0:1], 0x10
	s_bfe_u32 s8, ttmp6, 0x4000c
	s_and_b32 s15, ttmp6, 15
	s_add_co_i32 s8, s8, 1
	v_dual_mov_b32 v3, 0 :: v_dual_lshlrev_b32 v0, 1, v0
	s_mul_i32 s16, ttmp9, s8
	s_load_b128 s[8:11], s[0:1], 0x28
	s_add_co_i32 s15, s15, s16
	s_cmp_eq_u32 s14, 0
	s_wait_xcnt 0x0
	s_cselect_b32 s0, ttmp9, s15
	s_delay_alu instid0(SALU_CYCLE_1) | instskip(NEXT) | instid1(VALU_DEP_1)
	v_lshl_or_b32 v2, s0, 9, v0
	v_lshlrev_b64_e32 v[0:1], 1, v[2:3]
	s_wait_kmcnt 0x0
	s_cmp_neq_f16 s3, 0
	s_cselect_b32 s1, -1, 0
	s_add_co_i32 s14, s2, -1
	s_delay_alu instid0(SALU_CYCLE_1)
	s_ashr_i32 s15, s14, 31
	s_bitcmp1_b32 s2, 0
	v_cmp_eq_u64_e32 vcc_lo, s[14:15], v[2:3]
	v_cmp_gt_i64_e64 s0, s[14:15], v[2:3]
	s_cselect_b32 s2, -1, 0
	s_lshl_b64 s[6:7], s[6:7], 1
	s_lshl_b64 s[10:11], s[10:11], 1
	s_and_b32 s2, s2, vcc_lo
	s_branch .LBB65_4
.LBB65_2:                               ;   in Loop: Header=BB65_4 Depth=1
	s_wait_xcnt 0x0
	s_or_b32 exec_lo, exec_lo, s14
.LBB65_3:                               ;   in Loop: Header=BB65_4 Depth=1
	s_add_co_i32 s13, s13, 0x10000
	s_delay_alu instid0(SALU_CYCLE_1)
	s_cmp_lt_u32 s13, s12
	s_cbranch_scc0 .LBB65_9
.LBB65_4:                               ; =>This Inner Loop Header: Depth=1
	s_and_not1_b32 vcc_lo, exec_lo, s1
	s_cbranch_vccnz .LBB65_3
; %bb.5:                                ;   in Loop: Header=BB65_4 Depth=1
	s_load_b64 s[14:15], s[8:9], s13 offset:0x0 scale_offset
	s_load_b64 s[16:17], s[4:5], s13 offset:0x0 scale_offset
	s_wait_kmcnt 0x0
	s_add_nc_u64 s[14:15], s[14:15], s[10:11]
	s_add_nc_u64 s[16:17], s[16:17], s[6:7]
	v_add_nc_u64_e32 v[2:3], s[14:15], v[0:1]
	v_add_nc_u64_e32 v[4:5], s[16:17], v[0:1]
	s_and_saveexec_b32 s14, s0
	s_cbranch_execz .LBB65_7
; %bb.6:                                ;   in Loop: Header=BB65_4 Depth=1
	flat_load_b32 v6, v[2:3]
	flat_load_u16 v7, v[4:5]
	s_wait_loadcnt_dscnt 0x101
	v_lshrrev_b32_e32 v8, 16, v6
	s_wait_loadcnt_dscnt 0x0
	v_fmac_f16_e32 v6, s3, v7
	flat_store_b16 v[2:3], v6
	flat_load_u16 v6, v[4:5] offset:2
	s_wait_loadcnt_dscnt 0x0
	v_fmac_f16_e32 v8, s3, v6
	flat_store_b16 v[2:3], v8 offset:2
.LBB65_7:                               ;   in Loop: Header=BB65_4 Depth=1
	s_wait_xcnt 0x0
	s_or_b32 exec_lo, exec_lo, s14
	s_and_saveexec_b32 s14, s2
	s_cbranch_execz .LBB65_2
; %bb.8:                                ;   in Loop: Header=BB65_4 Depth=1
	flat_load_u16 v6, v[2:3]
	flat_load_u16 v7, v[4:5]
	s_wait_loadcnt_dscnt 0x0
	v_fmac_f16_e32 v6, s3, v7
	flat_store_b16 v[2:3], v6
	s_branch .LBB65_2
.LBB65_9:
	s_endpgm
	.section	.rodata,"a",@progbits
	.p2align	6, 0x0
	.amdhsa_kernel _ZL22rocblas_saxpy_2_kernelILi256EDF16_DF16_PKPKDF16_PKPDF16_EviT1_lT2_llT3_lli
		.amdhsa_group_segment_fixed_size 0
		.amdhsa_private_segment_fixed_size 0
		.amdhsa_kernarg_size 68
		.amdhsa_user_sgpr_count 2
		.amdhsa_user_sgpr_dispatch_ptr 0
		.amdhsa_user_sgpr_queue_ptr 0
		.amdhsa_user_sgpr_kernarg_segment_ptr 1
		.amdhsa_user_sgpr_dispatch_id 0
		.amdhsa_user_sgpr_kernarg_preload_length 0
		.amdhsa_user_sgpr_kernarg_preload_offset 0
		.amdhsa_user_sgpr_private_segment_size 0
		.amdhsa_wavefront_size32 1
		.amdhsa_uses_dynamic_stack 0
		.amdhsa_enable_private_segment 0
		.amdhsa_system_sgpr_workgroup_id_x 1
		.amdhsa_system_sgpr_workgroup_id_y 0
		.amdhsa_system_sgpr_workgroup_id_z 1
		.amdhsa_system_sgpr_workgroup_info 0
		.amdhsa_system_vgpr_workitem_id 0
		.amdhsa_next_free_vgpr 9
		.amdhsa_next_free_sgpr 18
		.amdhsa_named_barrier_count 0
		.amdhsa_reserve_vcc 1
		.amdhsa_float_round_mode_32 0
		.amdhsa_float_round_mode_16_64 0
		.amdhsa_float_denorm_mode_32 3
		.amdhsa_float_denorm_mode_16_64 3
		.amdhsa_fp16_overflow 0
		.amdhsa_memory_ordered 1
		.amdhsa_forward_progress 1
		.amdhsa_inst_pref_size 4
		.amdhsa_round_robin_scheduling 0
		.amdhsa_exception_fp_ieee_invalid_op 0
		.amdhsa_exception_fp_denorm_src 0
		.amdhsa_exception_fp_ieee_div_zero 0
		.amdhsa_exception_fp_ieee_overflow 0
		.amdhsa_exception_fp_ieee_underflow 0
		.amdhsa_exception_fp_ieee_inexact 0
		.amdhsa_exception_int_div_zero 0
	.end_amdhsa_kernel
	.section	.text._ZL22rocblas_saxpy_2_kernelILi256EDF16_DF16_PKPKDF16_PKPDF16_EviT1_lT2_llT3_lli,"axG",@progbits,_ZL22rocblas_saxpy_2_kernelILi256EDF16_DF16_PKPKDF16_PKPDF16_EviT1_lT2_llT3_lli,comdat
.Lfunc_end65:
	.size	_ZL22rocblas_saxpy_2_kernelILi256EDF16_DF16_PKPKDF16_PKPDF16_EviT1_lT2_llT3_lli, .Lfunc_end65-_ZL22rocblas_saxpy_2_kernelILi256EDF16_DF16_PKPKDF16_PKPDF16_EviT1_lT2_llT3_lli
                                        ; -- End function
	.set _ZL22rocblas_saxpy_2_kernelILi256EDF16_DF16_PKPKDF16_PKPDF16_EviT1_lT2_llT3_lli.num_vgpr, 9
	.set _ZL22rocblas_saxpy_2_kernelILi256EDF16_DF16_PKPKDF16_PKPDF16_EviT1_lT2_llT3_lli.num_agpr, 0
	.set _ZL22rocblas_saxpy_2_kernelILi256EDF16_DF16_PKPKDF16_PKPDF16_EviT1_lT2_llT3_lli.numbered_sgpr, 18
	.set _ZL22rocblas_saxpy_2_kernelILi256EDF16_DF16_PKPKDF16_PKPDF16_EviT1_lT2_llT3_lli.num_named_barrier, 0
	.set _ZL22rocblas_saxpy_2_kernelILi256EDF16_DF16_PKPKDF16_PKPDF16_EviT1_lT2_llT3_lli.private_seg_size, 0
	.set _ZL22rocblas_saxpy_2_kernelILi256EDF16_DF16_PKPKDF16_PKPDF16_EviT1_lT2_llT3_lli.uses_vcc, 1
	.set _ZL22rocblas_saxpy_2_kernelILi256EDF16_DF16_PKPKDF16_PKPDF16_EviT1_lT2_llT3_lli.uses_flat_scratch, 0
	.set _ZL22rocblas_saxpy_2_kernelILi256EDF16_DF16_PKPKDF16_PKPDF16_EviT1_lT2_llT3_lli.has_dyn_sized_stack, 0
	.set _ZL22rocblas_saxpy_2_kernelILi256EDF16_DF16_PKPKDF16_PKPDF16_EviT1_lT2_llT3_lli.has_recursion, 0
	.set _ZL22rocblas_saxpy_2_kernelILi256EDF16_DF16_PKPKDF16_PKPDF16_EviT1_lT2_llT3_lli.has_indirect_call, 0
	.section	.AMDGPU.csdata,"",@progbits
; Kernel info:
; codeLenInByte = 444
; TotalNumSgprs: 20
; NumVgprs: 9
; ScratchSize: 0
; MemoryBound: 0
; FloatMode: 240
; IeeeMode: 1
; LDSByteSize: 0 bytes/workgroup (compile time only)
; SGPRBlocks: 0
; VGPRBlocks: 0
; NumSGPRsForWavesPerEU: 20
; NumVGPRsForWavesPerEU: 9
; NamedBarCnt: 0
; Occupancy: 16
; WaveLimiterHint : 1
; COMPUTE_PGM_RSRC2:SCRATCH_EN: 0
; COMPUTE_PGM_RSRC2:USER_SGPR: 2
; COMPUTE_PGM_RSRC2:TRAP_HANDLER: 0
; COMPUTE_PGM_RSRC2:TGID_X_EN: 1
; COMPUTE_PGM_RSRC2:TGID_Y_EN: 0
; COMPUTE_PGM_RSRC2:TGID_Z_EN: 1
; COMPUTE_PGM_RSRC2:TIDIG_COMP_CNT: 0
	.section	.text._ZL27rocblas_axpy_kernel_batchedIiLi128ELi8EDF16_PKDF16_PKS1_PKPDF16_EviT3_lT4_lT_lT5_lS9_li,"axG",@progbits,_ZL27rocblas_axpy_kernel_batchedIiLi128ELi8EDF16_PKDF16_PKS1_PKPDF16_EviT3_lT4_lT_lT5_lS9_li,comdat
	.globl	_ZL27rocblas_axpy_kernel_batchedIiLi128ELi8EDF16_PKDF16_PKS1_PKPDF16_EviT3_lT4_lT_lT5_lS9_li ; -- Begin function _ZL27rocblas_axpy_kernel_batchedIiLi128ELi8EDF16_PKDF16_PKS1_PKPDF16_EviT3_lT4_lT_lT5_lS9_li
	.p2align	8
	.type	_ZL27rocblas_axpy_kernel_batchedIiLi128ELi8EDF16_PKDF16_PKS1_PKPDF16_EviT3_lT4_lT_lT5_lS9_li,@function
_ZL27rocblas_axpy_kernel_batchedIiLi128ELi8EDF16_PKDF16_PKS1_PKPDF16_EviT3_lT4_lT_lT5_lS9_li: ; @_ZL27rocblas_axpy_kernel_batchedIiLi128ELi8EDF16_PKDF16_PKS1_PKPDF16_EviT3_lT4_lT_lT5_lS9_li
; %bb.0:
	s_load_b32 s4, s[0:1], 0x0
	s_bfe_u32 s2, ttmp6, 0x4000c
	s_and_b32 s5, ttmp6, 15
	s_add_co_i32 s2, s2, 1
	s_getreg_b32 s3, hwreg(HW_REG_IB_STS2, 6, 4)
	s_mul_i32 s2, ttmp9, s2
	v_and_b32_e32 v1, 0x3ff, v0
	s_add_co_i32 s2, s5, s2
	v_mov_b32_e32 v5, 0
	s_wait_kmcnt 0x0
	s_ashr_i32 s5, s4, 31
	s_cmp_eq_u32 s3, 0
	s_cselect_b32 s2, ttmp9, s2
	s_delay_alu instid0(SALU_CYCLE_1) | instskip(SKIP_1) | instid1(VALU_DEP_1)
	v_lshl_add_u32 v4, s2, 7, v1
	s_mov_b32 s2, exec_lo
	v_cmpx_gt_i64_e64 s[4:5], v[4:5]
	s_cbranch_execz .LBB66_15
; %bb.1:
	s_load_b32 s2, s[0:1], 0x58
	s_bfe_u32 s4, ttmp6, 0x40014
	v_lshrrev_b32_e32 v0, 8, v0
	s_lshr_b32 s5, ttmp7, 16
	s_add_co_i32 s4, s4, 1
	s_bfe_u32 s6, ttmp6, 0x40008
	s_mul_i32 s4, s5, s4
	v_and_b32_e32 v0, 0xffc, v0
	s_add_co_i32 s6, s6, s4
	s_cmp_eq_u32 s3, 0
	s_cselect_b32 s3, s5, s6
	s_delay_alu instid0(VALU_DEP_1) | instid1(SALU_CYCLE_1)
	v_lshl_add_u32 v0, s3, 5, v0
	s_wait_kmcnt 0x0
	s_delay_alu instid0(VALU_DEP_1)
	v_cmp_gt_u32_e32 vcc_lo, s2, v0
	s_and_b32 exec_lo, exec_lo, vcc_lo
	s_cbranch_execz .LBB66_15
; %bb.2:
	s_clause 0x3
	s_load_b32 s4, s[0:1], 0x28
	s_load_b32 s6, s[0:1], 0x48
	s_load_b128 s[12:15], s[0:1], 0x38
	s_load_b32 s3, s[0:1], 0x68
	v_mov_b32_e32 v1, 0
	s_wait_kmcnt 0x0
	s_ashr_i32 s5, s4, 31
	s_ashr_i32 s7, s6, 31
	v_mul_u64_e32 v[2:3], s[4:5], v[4:5]
	v_mul_u64_e32 v[4:5], s[6:7], v[4:5]
	s_load_b256 s[4:11], s[0:1], 0x8
	s_wait_xcnt 0x0
	s_lshl_b32 s0, s3, 5
	s_mov_b32 s1, 0
	s_branch .LBB66_4
.LBB66_3:                               ;   in Loop: Header=BB66_4 Depth=1
	s_wait_xcnt 0x0
	s_or_b32 exec_lo, exec_lo, s3
	v_add_nc_u32_e32 v0, s0, v0
	s_delay_alu instid0(VALU_DEP_1) | instskip(SKIP_1) | instid1(SALU_CYCLE_1)
	v_cmp_le_u32_e32 vcc_lo, s2, v0
	s_or_b32 s1, vcc_lo, s1
	s_and_not1_b32 exec_lo, exec_lo, s1
	s_cbranch_execz .LBB66_15
.LBB66_4:                               ; =>This Inner Loop Header: Depth=1
	s_wait_kmcnt 0x0
	v_mul_u64_e32 v[6:7], s[6:7], v[0:1]
	s_mov_b32 s3, exec_lo
	s_delay_alu instid0(VALU_DEP_1)
	v_lshl_add_u64 v[6:7], v[6:7], 1, s[4:5]
	global_load_u16 v6, v[6:7], off
	s_wait_loadcnt 0x0
	s_wait_xcnt 0x0
	v_cmpx_neq_f16_e32 0, v6
	s_cbranch_execz .LBB66_6
; %bb.5:                                ;   in Loop: Header=BB66_4 Depth=1
	v_lshlrev_b64_e32 v[8:9], 3, v[0:1]
	s_delay_alu instid0(VALU_DEP_1)
	v_add_nc_u64_e32 v[10:11], s[12:13], v[8:9]
	v_add_nc_u64_e32 v[8:9], s[8:9], v[8:9]
	global_load_b64 v[12:13], v[10:11], off
	global_load_b64 v[14:15], v[8:9], off
	s_wait_loadcnt 0x1
	s_wait_xcnt 0x0
	v_lshl_add_u64 v[8:9], s[14:15], 1, v[12:13]
	s_wait_loadcnt 0x0
	v_lshl_add_u64 v[10:11], s[10:11], 1, v[14:15]
	s_delay_alu instid0(VALU_DEP_2) | instskip(NEXT) | instid1(VALU_DEP_2)
	v_lshl_add_u64 v[8:9], v[4:5], 1, v[8:9]
	v_lshl_add_u64 v[10:11], v[2:3], 1, v[10:11]
	flat_load_u16 v7, v[8:9]
	flat_load_u16 v12, v[10:11]
	s_wait_loadcnt_dscnt 0x0
	v_fmac_f16_e32 v7, v6, v12
	flat_store_b16 v[8:9], v7
.LBB66_6:                               ;   in Loop: Header=BB66_4 Depth=1
	s_wait_xcnt 0x0
	s_or_b32 exec_lo, exec_lo, s3
	v_add_nc_u32_e32 v6, 1, v0
	s_mov_b32 s3, exec_lo
	s_delay_alu instid0(VALU_DEP_1)
	v_cmpx_gt_u32_e64 s2, v6
	s_cbranch_execz .LBB66_9
; %bb.7:                                ;   in Loop: Header=BB66_4 Depth=1
	v_mov_b32_e32 v7, v1
	s_delay_alu instid0(VALU_DEP_1) | instskip(NEXT) | instid1(VALU_DEP_1)
	v_mul_u64_e32 v[6:7], s[6:7], v[6:7]
	v_lshl_add_u64 v[6:7], v[6:7], 1, s[4:5]
	global_load_u16 v6, v[6:7], off
	s_wait_loadcnt 0x0
	v_cmp_neq_f16_e32 vcc_lo, 0, v6
	s_wait_xcnt 0x0
	s_and_b32 exec_lo, exec_lo, vcc_lo
	s_cbranch_execz .LBB66_9
; %bb.8:                                ;   in Loop: Header=BB66_4 Depth=1
	v_lshlrev_b64_e32 v[8:9], 3, v[0:1]
	s_delay_alu instid0(VALU_DEP_1)
	v_add_nc_u64_e32 v[10:11], s[12:13], v[8:9]
	v_add_nc_u64_e32 v[8:9], s[8:9], v[8:9]
	global_load_b64 v[12:13], v[10:11], off offset:8
	global_load_b64 v[14:15], v[8:9], off offset:8
	s_wait_loadcnt 0x1
	s_wait_xcnt 0x0
	v_lshl_add_u64 v[8:9], s[14:15], 1, v[12:13]
	s_wait_loadcnt 0x0
	v_lshl_add_u64 v[10:11], s[10:11], 1, v[14:15]
	s_delay_alu instid0(VALU_DEP_2) | instskip(NEXT) | instid1(VALU_DEP_2)
	v_lshl_add_u64 v[8:9], v[4:5], 1, v[8:9]
	v_lshl_add_u64 v[10:11], v[2:3], 1, v[10:11]
	flat_load_u16 v7, v[8:9]
	flat_load_u16 v12, v[10:11]
	s_wait_loadcnt_dscnt 0x0
	v_fmac_f16_e32 v7, v6, v12
	flat_store_b16 v[8:9], v7
.LBB66_9:                               ;   in Loop: Header=BB66_4 Depth=1
	s_wait_xcnt 0x0
	s_or_b32 exec_lo, exec_lo, s3
	v_add_nc_u32_e32 v6, 2, v0
	s_mov_b32 s3, exec_lo
	s_delay_alu instid0(VALU_DEP_1)
	v_cmpx_gt_u32_e64 s2, v6
	s_cbranch_execz .LBB66_12
; %bb.10:                               ;   in Loop: Header=BB66_4 Depth=1
	v_mov_b32_e32 v7, v1
	s_delay_alu instid0(VALU_DEP_1) | instskip(NEXT) | instid1(VALU_DEP_1)
	v_mul_u64_e32 v[6:7], s[6:7], v[6:7]
	v_lshl_add_u64 v[6:7], v[6:7], 1, s[4:5]
	global_load_u16 v6, v[6:7], off
	s_wait_loadcnt 0x0
	v_cmp_neq_f16_e32 vcc_lo, 0, v6
	s_wait_xcnt 0x0
	s_and_b32 exec_lo, exec_lo, vcc_lo
	s_cbranch_execz .LBB66_12
; %bb.11:                               ;   in Loop: Header=BB66_4 Depth=1
	v_lshlrev_b64_e32 v[8:9], 3, v[0:1]
	s_delay_alu instid0(VALU_DEP_1)
	v_add_nc_u64_e32 v[10:11], s[12:13], v[8:9]
	v_add_nc_u64_e32 v[8:9], s[8:9], v[8:9]
	global_load_b64 v[12:13], v[10:11], off offset:16
	global_load_b64 v[14:15], v[8:9], off offset:16
	s_wait_loadcnt 0x1
	s_wait_xcnt 0x0
	v_lshl_add_u64 v[8:9], s[14:15], 1, v[12:13]
	s_wait_loadcnt 0x0
	v_lshl_add_u64 v[10:11], s[10:11], 1, v[14:15]
	s_delay_alu instid0(VALU_DEP_2) | instskip(NEXT) | instid1(VALU_DEP_2)
	v_lshl_add_u64 v[8:9], v[4:5], 1, v[8:9]
	v_lshl_add_u64 v[10:11], v[2:3], 1, v[10:11]
	flat_load_u16 v7, v[8:9]
	flat_load_u16 v12, v[10:11]
	s_wait_loadcnt_dscnt 0x0
	v_fmac_f16_e32 v7, v6, v12
	flat_store_b16 v[8:9], v7
.LBB66_12:                              ;   in Loop: Header=BB66_4 Depth=1
	s_wait_xcnt 0x0
	s_or_b32 exec_lo, exec_lo, s3
	v_add_nc_u32_e32 v6, 3, v0
	s_mov_b32 s3, exec_lo
	s_delay_alu instid0(VALU_DEP_1)
	v_cmpx_gt_u32_e64 s2, v6
	s_cbranch_execz .LBB66_3
; %bb.13:                               ;   in Loop: Header=BB66_4 Depth=1
	v_mov_b32_e32 v7, v1
	s_delay_alu instid0(VALU_DEP_1) | instskip(NEXT) | instid1(VALU_DEP_1)
	v_mul_u64_e32 v[6:7], s[6:7], v[6:7]
	v_lshl_add_u64 v[6:7], v[6:7], 1, s[4:5]
	global_load_u16 v6, v[6:7], off
	s_wait_loadcnt 0x0
	v_cmp_neq_f16_e32 vcc_lo, 0, v6
	s_wait_xcnt 0x0
	s_and_b32 exec_lo, exec_lo, vcc_lo
	s_cbranch_execz .LBB66_3
; %bb.14:                               ;   in Loop: Header=BB66_4 Depth=1
	v_lshlrev_b64_e32 v[8:9], 3, v[0:1]
	s_delay_alu instid0(VALU_DEP_1)
	v_add_nc_u64_e32 v[10:11], s[12:13], v[8:9]
	v_add_nc_u64_e32 v[8:9], s[8:9], v[8:9]
	global_load_b64 v[12:13], v[10:11], off offset:24
	global_load_b64 v[14:15], v[8:9], off offset:24
	s_wait_loadcnt 0x1
	s_wait_xcnt 0x0
	v_lshl_add_u64 v[8:9], s[14:15], 1, v[12:13]
	s_wait_loadcnt 0x0
	v_lshl_add_u64 v[10:11], s[10:11], 1, v[14:15]
	s_delay_alu instid0(VALU_DEP_2) | instskip(NEXT) | instid1(VALU_DEP_2)
	v_lshl_add_u64 v[8:9], v[4:5], 1, v[8:9]
	v_lshl_add_u64 v[10:11], v[2:3], 1, v[10:11]
	flat_load_u16 v7, v[8:9]
	flat_load_u16 v12, v[10:11]
	s_wait_loadcnt_dscnt 0x0
	v_fmac_f16_e32 v7, v6, v12
	flat_store_b16 v[8:9], v7
	s_branch .LBB66_3
.LBB66_15:
	s_endpgm
	.section	.rodata,"a",@progbits
	.p2align	6, 0x0
	.amdhsa_kernel _ZL27rocblas_axpy_kernel_batchedIiLi128ELi8EDF16_PKDF16_PKS1_PKPDF16_EviT3_lT4_lT_lT5_lS9_li
		.amdhsa_group_segment_fixed_size 0
		.amdhsa_private_segment_fixed_size 0
		.amdhsa_kernarg_size 352
		.amdhsa_user_sgpr_count 2
		.amdhsa_user_sgpr_dispatch_ptr 0
		.amdhsa_user_sgpr_queue_ptr 0
		.amdhsa_user_sgpr_kernarg_segment_ptr 1
		.amdhsa_user_sgpr_dispatch_id 0
		.amdhsa_user_sgpr_kernarg_preload_length 0
		.amdhsa_user_sgpr_kernarg_preload_offset 0
		.amdhsa_user_sgpr_private_segment_size 0
		.amdhsa_wavefront_size32 1
		.amdhsa_uses_dynamic_stack 0
		.amdhsa_enable_private_segment 0
		.amdhsa_system_sgpr_workgroup_id_x 1
		.amdhsa_system_sgpr_workgroup_id_y 0
		.amdhsa_system_sgpr_workgroup_id_z 1
		.amdhsa_system_sgpr_workgroup_info 0
		.amdhsa_system_vgpr_workitem_id 1
		.amdhsa_next_free_vgpr 16
		.amdhsa_next_free_sgpr 16
		.amdhsa_named_barrier_count 0
		.amdhsa_reserve_vcc 1
		.amdhsa_float_round_mode_32 0
		.amdhsa_float_round_mode_16_64 0
		.amdhsa_float_denorm_mode_32 3
		.amdhsa_float_denorm_mode_16_64 3
		.amdhsa_fp16_overflow 0
		.amdhsa_memory_ordered 1
		.amdhsa_forward_progress 1
		.amdhsa_inst_pref_size 9
		.amdhsa_round_robin_scheduling 0
		.amdhsa_exception_fp_ieee_invalid_op 0
		.amdhsa_exception_fp_denorm_src 0
		.amdhsa_exception_fp_ieee_div_zero 0
		.amdhsa_exception_fp_ieee_overflow 0
		.amdhsa_exception_fp_ieee_underflow 0
		.amdhsa_exception_fp_ieee_inexact 0
		.amdhsa_exception_int_div_zero 0
	.end_amdhsa_kernel
	.section	.text._ZL27rocblas_axpy_kernel_batchedIiLi128ELi8EDF16_PKDF16_PKS1_PKPDF16_EviT3_lT4_lT_lT5_lS9_li,"axG",@progbits,_ZL27rocblas_axpy_kernel_batchedIiLi128ELi8EDF16_PKDF16_PKS1_PKPDF16_EviT3_lT4_lT_lT5_lS9_li,comdat
.Lfunc_end66:
	.size	_ZL27rocblas_axpy_kernel_batchedIiLi128ELi8EDF16_PKDF16_PKS1_PKPDF16_EviT3_lT4_lT_lT5_lS9_li, .Lfunc_end66-_ZL27rocblas_axpy_kernel_batchedIiLi128ELi8EDF16_PKDF16_PKS1_PKPDF16_EviT3_lT4_lT_lT5_lS9_li
                                        ; -- End function
	.set _ZL27rocblas_axpy_kernel_batchedIiLi128ELi8EDF16_PKDF16_PKS1_PKPDF16_EviT3_lT4_lT_lT5_lS9_li.num_vgpr, 16
	.set _ZL27rocblas_axpy_kernel_batchedIiLi128ELi8EDF16_PKDF16_PKS1_PKPDF16_EviT3_lT4_lT_lT5_lS9_li.num_agpr, 0
	.set _ZL27rocblas_axpy_kernel_batchedIiLi128ELi8EDF16_PKDF16_PKS1_PKPDF16_EviT3_lT4_lT_lT5_lS9_li.numbered_sgpr, 16
	.set _ZL27rocblas_axpy_kernel_batchedIiLi128ELi8EDF16_PKDF16_PKS1_PKPDF16_EviT3_lT4_lT_lT5_lS9_li.num_named_barrier, 0
	.set _ZL27rocblas_axpy_kernel_batchedIiLi128ELi8EDF16_PKDF16_PKS1_PKPDF16_EviT3_lT4_lT_lT5_lS9_li.private_seg_size, 0
	.set _ZL27rocblas_axpy_kernel_batchedIiLi128ELi8EDF16_PKDF16_PKS1_PKPDF16_EviT3_lT4_lT_lT5_lS9_li.uses_vcc, 1
	.set _ZL27rocblas_axpy_kernel_batchedIiLi128ELi8EDF16_PKDF16_PKS1_PKPDF16_EviT3_lT4_lT_lT5_lS9_li.uses_flat_scratch, 0
	.set _ZL27rocblas_axpy_kernel_batchedIiLi128ELi8EDF16_PKDF16_PKS1_PKPDF16_EviT3_lT4_lT_lT5_lS9_li.has_dyn_sized_stack, 0
	.set _ZL27rocblas_axpy_kernel_batchedIiLi128ELi8EDF16_PKDF16_PKS1_PKPDF16_EviT3_lT4_lT_lT5_lS9_li.has_recursion, 0
	.set _ZL27rocblas_axpy_kernel_batchedIiLi128ELi8EDF16_PKDF16_PKS1_PKPDF16_EviT3_lT4_lT_lT5_lS9_li.has_indirect_call, 0
	.section	.AMDGPU.csdata,"",@progbits
; Kernel info:
; codeLenInByte = 1140
; TotalNumSgprs: 18
; NumVgprs: 16
; ScratchSize: 0
; MemoryBound: 0
; FloatMode: 240
; IeeeMode: 1
; LDSByteSize: 0 bytes/workgroup (compile time only)
; SGPRBlocks: 0
; VGPRBlocks: 0
; NumSGPRsForWavesPerEU: 18
; NumVGPRsForWavesPerEU: 16
; NamedBarCnt: 0
; Occupancy: 16
; WaveLimiterHint : 1
; COMPUTE_PGM_RSRC2:SCRATCH_EN: 0
; COMPUTE_PGM_RSRC2:USER_SGPR: 2
; COMPUTE_PGM_RSRC2:TRAP_HANDLER: 0
; COMPUTE_PGM_RSRC2:TGID_X_EN: 1
; COMPUTE_PGM_RSRC2:TGID_Y_EN: 0
; COMPUTE_PGM_RSRC2:TGID_Z_EN: 1
; COMPUTE_PGM_RSRC2:TIDIG_COMP_CNT: 1
	.section	.text._ZL27rocblas_axpy_kernel_batchedIiLi128ELi8EDF16_DF16_PKPKDF16_PKPDF16_EviT3_lT4_lT_lT5_lS9_li,"axG",@progbits,_ZL27rocblas_axpy_kernel_batchedIiLi128ELi8EDF16_DF16_PKPKDF16_PKPDF16_EviT3_lT4_lT_lT5_lS9_li,comdat
	.globl	_ZL27rocblas_axpy_kernel_batchedIiLi128ELi8EDF16_DF16_PKPKDF16_PKPDF16_EviT3_lT4_lT_lT5_lS9_li ; -- Begin function _ZL27rocblas_axpy_kernel_batchedIiLi128ELi8EDF16_DF16_PKPKDF16_PKPDF16_EviT3_lT4_lT_lT5_lS9_li
	.p2align	8
	.type	_ZL27rocblas_axpy_kernel_batchedIiLi128ELi8EDF16_DF16_PKPKDF16_PKPDF16_EviT3_lT4_lT_lT5_lS9_li,@function
_ZL27rocblas_axpy_kernel_batchedIiLi128ELi8EDF16_DF16_PKPKDF16_PKPDF16_EviT3_lT4_lT_lT5_lS9_li: ; @_ZL27rocblas_axpy_kernel_batchedIiLi128ELi8EDF16_DF16_PKPKDF16_PKPDF16_EviT3_lT4_lT_lT5_lS9_li
; %bb.0:
	s_load_b64 s[2:3], s[0:1], 0x0
	s_bfe_u32 s4, ttmp6, 0x4000c
	s_and_b32 s5, ttmp6, 15
	s_add_co_i32 s6, s4, 1
	s_getreg_b32 s4, hwreg(HW_REG_IB_STS2, 6, 4)
	s_mul_i32 s6, ttmp9, s6
	v_and_b32_e32 v1, 0x3ff, v0
	s_add_co_i32 s5, s5, s6
	s_cmp_eq_u32 s4, 0
	v_mov_b32_e32 v3, 0
	s_cselect_b32 s5, ttmp9, s5
	s_delay_alu instid0(SALU_CYCLE_1)
	v_lshl_add_u32 v2, s5, 7, v1
	s_wait_kmcnt 0x0
	s_ashr_i32 s7, s2, 31
	s_mov_b32 s6, s2
	s_mov_b32 s2, exec_lo
	v_cmpx_gt_i64_e64 s[6:7], v[2:3]
	s_cbranch_execz .LBB67_12
; %bb.1:
	s_load_b32 s2, s[0:1], 0x50
	s_bfe_u32 s5, ttmp6, 0x40014
	v_lshrrev_b32_e32 v0, 8, v0
	s_lshr_b32 s6, ttmp7, 16
	s_add_co_i32 s5, s5, 1
	s_bfe_u32 s7, ttmp6, 0x40008
	s_mul_i32 s5, s6, s5
	v_and_b32_e32 v0, 0xffc, v0
	s_add_co_i32 s7, s7, s5
	s_cmp_eq_u32 s4, 0
	s_cselect_b32 s4, s6, s7
	s_delay_alu instid0(VALU_DEP_1) | instid1(SALU_CYCLE_1)
	v_lshl_add_u32 v4, s4, 5, v0
	s_wait_kmcnt 0x0
	s_delay_alu instid0(VALU_DEP_1)
	v_cmp_gt_u32_e32 vcc_lo, s2, v4
	s_and_b32 exec_lo, exec_lo, vcc_lo
	s_cbranch_execz .LBB67_12
; %bb.2:
	s_clause 0x2
	s_load_b32 s4, s[0:1], 0x20
	s_load_b32 s6, s[0:1], 0x40
	s_load_b32 s12, s[0:1], 0x60
	s_wait_kmcnt 0x0
	s_ashr_i32 s5, s4, 31
	s_ashr_i32 s7, s6, 31
	v_mul_u64_e32 v[0:1], s[4:5], v[2:3]
	v_mul_u64_e32 v[2:3], s[6:7], v[2:3]
	s_clause 0x1
	s_load_b128 s[4:7], s[0:1], 0x10
	s_load_b128 s[8:11], s[0:1], 0x30
	s_cmp_neq_f16 s3, 0
	s_wait_xcnt 0x0
	s_mov_b32 s1, 0
	s_cselect_b32 s0, -1, 0
	s_lshl_b32 s12, s12, 5
	s_branch .LBB67_4
.LBB67_3:                               ;   in Loop: Header=BB67_4 Depth=1
	s_wait_xcnt 0x0
	s_or_b32 exec_lo, exec_lo, s13
	v_add_nc_u32_e32 v4, s12, v4
	s_delay_alu instid0(VALU_DEP_1) | instskip(SKIP_1) | instid1(SALU_CYCLE_1)
	v_cmp_le_u32_e32 vcc_lo, s2, v4
	s_or_b32 s1, vcc_lo, s1
	s_and_not1_b32 exec_lo, exec_lo, s1
	s_cbranch_execz .LBB67_12
.LBB67_4:                               ; =>This Inner Loop Header: Depth=1
	s_and_not1_b32 vcc_lo, exec_lo, s0
	s_cbranch_vccnz .LBB67_6
; %bb.5:                                ;   in Loop: Header=BB67_4 Depth=1
	s_wait_kmcnt 0x0
	s_clause 0x1
	global_load_b64 v[6:7], v4, s[8:9] scale_offset
	global_load_b64 v[8:9], v4, s[4:5] scale_offset
	s_wait_loadcnt 0x1
	v_lshl_add_u64 v[6:7], s[10:11], 1, v[6:7]
	s_wait_loadcnt 0x0
	v_lshl_add_u64 v[8:9], s[6:7], 1, v[8:9]
	s_delay_alu instid0(VALU_DEP_2) | instskip(NEXT) | instid1(VALU_DEP_2)
	v_lshl_add_u64 v[6:7], v[2:3], 1, v[6:7]
	v_lshl_add_u64 v[8:9], v[0:1], 1, v[8:9]
	flat_load_u16 v5, v[6:7]
	flat_load_u16 v10, v[8:9]
	s_wait_loadcnt_dscnt 0x0
	v_fmac_f16_e32 v5, s3, v10
	flat_store_b16 v[6:7], v5
.LBB67_6:                               ;   in Loop: Header=BB67_4 Depth=1
	s_wait_xcnt 0x0
	v_add_nc_u32_e32 v5, 1, v4
	s_delay_alu instid0(VALU_DEP_1) | instskip(SKIP_1) | instid1(SALU_CYCLE_1)
	v_cmp_gt_u32_e32 vcc_lo, s2, v5
	s_and_b32 s14, s0, vcc_lo
	s_and_saveexec_b32 s13, s14
	s_cbranch_execz .LBB67_8
; %bb.7:                                ;   in Loop: Header=BB67_4 Depth=1
	s_wait_kmcnt 0x0
	s_clause 0x1
	global_load_b64 v[6:7], v4, s[8:9] offset:8 scale_offset
	global_load_b64 v[8:9], v4, s[4:5] offset:8 scale_offset
	s_wait_loadcnt 0x1
	v_lshl_add_u64 v[6:7], s[10:11], 1, v[6:7]
	s_wait_loadcnt 0x0
	v_lshl_add_u64 v[8:9], s[6:7], 1, v[8:9]
	s_delay_alu instid0(VALU_DEP_2) | instskip(NEXT) | instid1(VALU_DEP_2)
	v_lshl_add_u64 v[6:7], v[2:3], 1, v[6:7]
	v_lshl_add_u64 v[8:9], v[0:1], 1, v[8:9]
	flat_load_u16 v5, v[6:7]
	flat_load_u16 v10, v[8:9]
	s_wait_loadcnt_dscnt 0x0
	v_fmac_f16_e32 v5, s3, v10
	flat_store_b16 v[6:7], v5
.LBB67_8:                               ;   in Loop: Header=BB67_4 Depth=1
	s_wait_xcnt 0x0
	s_or_b32 exec_lo, exec_lo, s13
	v_add_nc_u32_e32 v5, 2, v4
	s_delay_alu instid0(VALU_DEP_1) | instskip(SKIP_1) | instid1(SALU_CYCLE_1)
	v_cmp_gt_u32_e32 vcc_lo, s2, v5
	s_and_b32 s14, s0, vcc_lo
	s_and_saveexec_b32 s13, s14
	s_cbranch_execz .LBB67_10
; %bb.9:                                ;   in Loop: Header=BB67_4 Depth=1
	s_wait_kmcnt 0x0
	s_clause 0x1
	global_load_b64 v[6:7], v4, s[8:9] offset:16 scale_offset
	global_load_b64 v[8:9], v4, s[4:5] offset:16 scale_offset
	s_wait_loadcnt 0x1
	v_lshl_add_u64 v[6:7], s[10:11], 1, v[6:7]
	s_wait_loadcnt 0x0
	v_lshl_add_u64 v[8:9], s[6:7], 1, v[8:9]
	s_delay_alu instid0(VALU_DEP_2) | instskip(NEXT) | instid1(VALU_DEP_2)
	v_lshl_add_u64 v[6:7], v[2:3], 1, v[6:7]
	v_lshl_add_u64 v[8:9], v[0:1], 1, v[8:9]
	flat_load_u16 v5, v[6:7]
	flat_load_u16 v10, v[8:9]
	s_wait_loadcnt_dscnt 0x0
	v_fmac_f16_e32 v5, s3, v10
	flat_store_b16 v[6:7], v5
.LBB67_10:                              ;   in Loop: Header=BB67_4 Depth=1
	s_wait_xcnt 0x0
	s_or_b32 exec_lo, exec_lo, s13
	v_add_nc_u32_e32 v5, 3, v4
	s_delay_alu instid0(VALU_DEP_1) | instskip(SKIP_1) | instid1(SALU_CYCLE_1)
	v_cmp_gt_u32_e32 vcc_lo, s2, v5
	s_and_b32 s14, s0, vcc_lo
	s_and_saveexec_b32 s13, s14
	s_cbranch_execz .LBB67_3
; %bb.11:                               ;   in Loop: Header=BB67_4 Depth=1
	s_wait_kmcnt 0x0
	s_clause 0x1
	global_load_b64 v[6:7], v4, s[8:9] offset:24 scale_offset
	global_load_b64 v[8:9], v4, s[4:5] offset:24 scale_offset
	s_wait_loadcnt 0x1
	v_lshl_add_u64 v[6:7], s[10:11], 1, v[6:7]
	s_wait_loadcnt 0x0
	v_lshl_add_u64 v[8:9], s[6:7], 1, v[8:9]
	s_delay_alu instid0(VALU_DEP_2) | instskip(NEXT) | instid1(VALU_DEP_2)
	v_lshl_add_u64 v[6:7], v[2:3], 1, v[6:7]
	v_lshl_add_u64 v[8:9], v[0:1], 1, v[8:9]
	flat_load_u16 v5, v[6:7]
	flat_load_u16 v10, v[8:9]
	s_wait_loadcnt_dscnt 0x0
	v_fmac_f16_e32 v5, s3, v10
	flat_store_b16 v[6:7], v5
	s_branch .LBB67_3
.LBB67_12:
	s_endpgm
	.section	.rodata,"a",@progbits
	.p2align	6, 0x0
	.amdhsa_kernel _ZL27rocblas_axpy_kernel_batchedIiLi128ELi8EDF16_DF16_PKPKDF16_PKPDF16_EviT3_lT4_lT_lT5_lS9_li
		.amdhsa_group_segment_fixed_size 0
		.amdhsa_private_segment_fixed_size 0
		.amdhsa_kernarg_size 344
		.amdhsa_user_sgpr_count 2
		.amdhsa_user_sgpr_dispatch_ptr 0
		.amdhsa_user_sgpr_queue_ptr 0
		.amdhsa_user_sgpr_kernarg_segment_ptr 1
		.amdhsa_user_sgpr_dispatch_id 0
		.amdhsa_user_sgpr_kernarg_preload_length 0
		.amdhsa_user_sgpr_kernarg_preload_offset 0
		.amdhsa_user_sgpr_private_segment_size 0
		.amdhsa_wavefront_size32 1
		.amdhsa_uses_dynamic_stack 0
		.amdhsa_enable_private_segment 0
		.amdhsa_system_sgpr_workgroup_id_x 1
		.amdhsa_system_sgpr_workgroup_id_y 0
		.amdhsa_system_sgpr_workgroup_id_z 1
		.amdhsa_system_sgpr_workgroup_info 0
		.amdhsa_system_vgpr_workitem_id 1
		.amdhsa_next_free_vgpr 11
		.amdhsa_next_free_sgpr 15
		.amdhsa_named_barrier_count 0
		.amdhsa_reserve_vcc 1
		.amdhsa_float_round_mode_32 0
		.amdhsa_float_round_mode_16_64 0
		.amdhsa_float_denorm_mode_32 3
		.amdhsa_float_denorm_mode_16_64 3
		.amdhsa_fp16_overflow 0
		.amdhsa_memory_ordered 1
		.amdhsa_forward_progress 1
		.amdhsa_inst_pref_size 8
		.amdhsa_round_robin_scheduling 0
		.amdhsa_exception_fp_ieee_invalid_op 0
		.amdhsa_exception_fp_denorm_src 0
		.amdhsa_exception_fp_ieee_div_zero 0
		.amdhsa_exception_fp_ieee_overflow 0
		.amdhsa_exception_fp_ieee_underflow 0
		.amdhsa_exception_fp_ieee_inexact 0
		.amdhsa_exception_int_div_zero 0
	.end_amdhsa_kernel
	.section	.text._ZL27rocblas_axpy_kernel_batchedIiLi128ELi8EDF16_DF16_PKPKDF16_PKPDF16_EviT3_lT4_lT_lT5_lS9_li,"axG",@progbits,_ZL27rocblas_axpy_kernel_batchedIiLi128ELi8EDF16_DF16_PKPKDF16_PKPDF16_EviT3_lT4_lT_lT5_lS9_li,comdat
.Lfunc_end67:
	.size	_ZL27rocblas_axpy_kernel_batchedIiLi128ELi8EDF16_DF16_PKPKDF16_PKPDF16_EviT3_lT4_lT_lT5_lS9_li, .Lfunc_end67-_ZL27rocblas_axpy_kernel_batchedIiLi128ELi8EDF16_DF16_PKPKDF16_PKPDF16_EviT3_lT4_lT_lT5_lS9_li
                                        ; -- End function
	.set _ZL27rocblas_axpy_kernel_batchedIiLi128ELi8EDF16_DF16_PKPKDF16_PKPDF16_EviT3_lT4_lT_lT5_lS9_li.num_vgpr, 11
	.set _ZL27rocblas_axpy_kernel_batchedIiLi128ELi8EDF16_DF16_PKPKDF16_PKPDF16_EviT3_lT4_lT_lT5_lS9_li.num_agpr, 0
	.set _ZL27rocblas_axpy_kernel_batchedIiLi128ELi8EDF16_DF16_PKPKDF16_PKPDF16_EviT3_lT4_lT_lT5_lS9_li.numbered_sgpr, 15
	.set _ZL27rocblas_axpy_kernel_batchedIiLi128ELi8EDF16_DF16_PKPKDF16_PKPDF16_EviT3_lT4_lT_lT5_lS9_li.num_named_barrier, 0
	.set _ZL27rocblas_axpy_kernel_batchedIiLi128ELi8EDF16_DF16_PKPKDF16_PKPDF16_EviT3_lT4_lT_lT5_lS9_li.private_seg_size, 0
	.set _ZL27rocblas_axpy_kernel_batchedIiLi128ELi8EDF16_DF16_PKPKDF16_PKPDF16_EviT3_lT4_lT_lT5_lS9_li.uses_vcc, 1
	.set _ZL27rocblas_axpy_kernel_batchedIiLi128ELi8EDF16_DF16_PKPKDF16_PKPDF16_EviT3_lT4_lT_lT5_lS9_li.uses_flat_scratch, 0
	.set _ZL27rocblas_axpy_kernel_batchedIiLi128ELi8EDF16_DF16_PKPKDF16_PKPDF16_EviT3_lT4_lT_lT5_lS9_li.has_dyn_sized_stack, 0
	.set _ZL27rocblas_axpy_kernel_batchedIiLi128ELi8EDF16_DF16_PKPKDF16_PKPDF16_EviT3_lT4_lT_lT5_lS9_li.has_recursion, 0
	.set _ZL27rocblas_axpy_kernel_batchedIiLi128ELi8EDF16_DF16_PKPKDF16_PKPDF16_EviT3_lT4_lT_lT5_lS9_li.has_indirect_call, 0
	.section	.AMDGPU.csdata,"",@progbits
; Kernel info:
; codeLenInByte = 900
; TotalNumSgprs: 17
; NumVgprs: 11
; ScratchSize: 0
; MemoryBound: 0
; FloatMode: 240
; IeeeMode: 1
; LDSByteSize: 0 bytes/workgroup (compile time only)
; SGPRBlocks: 0
; VGPRBlocks: 0
; NumSGPRsForWavesPerEU: 17
; NumVGPRsForWavesPerEU: 11
; NamedBarCnt: 0
; Occupancy: 16
; WaveLimiterHint : 1
; COMPUTE_PGM_RSRC2:SCRATCH_EN: 0
; COMPUTE_PGM_RSRC2:USER_SGPR: 2
; COMPUTE_PGM_RSRC2:TRAP_HANDLER: 0
; COMPUTE_PGM_RSRC2:TGID_X_EN: 1
; COMPUTE_PGM_RSRC2:TGID_Y_EN: 0
; COMPUTE_PGM_RSRC2:TGID_Z_EN: 1
; COMPUTE_PGM_RSRC2:TIDIG_COMP_CNT: 1
	.section	.text._ZL19rocblas_axpy_kernelIiLi256EDF16_PKDF16_PKS1_PKPDF16_EviT2_lT3_lT_lT4_lS9_li,"axG",@progbits,_ZL19rocblas_axpy_kernelIiLi256EDF16_PKDF16_PKS1_PKPDF16_EviT2_lT3_lT_lT4_lS9_li,comdat
	.globl	_ZL19rocblas_axpy_kernelIiLi256EDF16_PKDF16_PKS1_PKPDF16_EviT2_lT3_lT_lT4_lS9_li ; -- Begin function _ZL19rocblas_axpy_kernelIiLi256EDF16_PKDF16_PKS1_PKPDF16_EviT2_lT3_lT_lT4_lS9_li
	.p2align	8
	.type	_ZL19rocblas_axpy_kernelIiLi256EDF16_PKDF16_PKS1_PKPDF16_EviT2_lT3_lT_lT4_lS9_li,@function
_ZL19rocblas_axpy_kernelIiLi256EDF16_PKDF16_PKS1_PKPDF16_EviT2_lT3_lT_lT4_lS9_li: ; @_ZL19rocblas_axpy_kernelIiLi256EDF16_PKDF16_PKS1_PKPDF16_EviT2_lT3_lT_lT4_lS9_li
; %bb.0:
	s_load_b32 s16, s[0:1], 0x58
	s_bfe_u32 s2, ttmp6, 0x40014
	s_lshr_b32 s3, ttmp7, 16
	s_add_co_i32 s2, s2, 1
	s_bfe_u32 s5, ttmp6, 0x40008
	s_mul_i32 s2, s3, s2
	s_getreg_b32 s4, hwreg(HW_REG_IB_STS2, 6, 4)
	s_add_co_i32 s5, s5, s2
	s_cmp_eq_u32 s4, 0
	s_cselect_b32 s2, s3, s5
	s_mov_b32 s3, 0
	s_wait_kmcnt 0x0
	s_cmp_ge_u32 s2, s16
	s_cbranch_scc1 .LBB68_5
; %bb.1:
	s_clause 0x2
	s_load_b32 s18, s[0:1], 0x0
	s_load_b32 s6, s[0:1], 0x48
	;; [unrolled: 1-line block ×3, first 2 shown]
	s_bfe_u32 s5, ttmp6, 0x4000c
	s_and_b32 s7, ttmp6, 15
	s_add_co_i32 s5, s5, 1
	v_mov_b32_e32 v1, 0
	s_mul_i32 s5, ttmp9, s5
	s_delay_alu instid0(SALU_CYCLE_1)
	s_add_co_i32 s5, s7, s5
	s_wait_kmcnt 0x0
	s_ashr_i32 s19, s18, 31
	s_ashr_i32 s7, s6, 31
	;; [unrolled: 1-line block ×3, first 2 shown]
	s_cmp_eq_u32 s4, 0
	s_cselect_b32 s4, ttmp9, s5
	s_delay_alu instid0(SALU_CYCLE_1) | instskip(NEXT) | instid1(VALU_DEP_1)
	v_lshl_or_b32 v0, s4, 8, v0
	v_mul_u64_e32 v[2:3], s[8:9], v[0:1]
	v_mul_u64_e32 v[4:5], s[6:7], v[0:1]
	s_clause 0x1
	s_load_b256 s[4:11], s[0:1], 0x8
	s_load_b128 s[12:15], s[0:1], 0x38
	v_cmp_gt_i64_e32 vcc_lo, s[18:19], v[0:1]
	s_wait_kmcnt 0x0
	s_lshl_b64 s[0:1], s[10:11], 1
	s_lshl_b64 s[10:11], s[14:15], 1
	s_branch .LBB68_3
.LBB68_2:                               ;   in Loop: Header=BB68_3 Depth=1
	s_wait_xcnt 0x0
	s_or_b32 exec_lo, exec_lo, s14
	s_add_co_i32 s2, s2, 0x10000
	s_delay_alu instid0(SALU_CYCLE_1)
	s_cmp_lt_u32 s2, s16
	s_cbranch_scc0 .LBB68_5
.LBB68_3:                               ; =>This Inner Loop Header: Depth=1
	s_mul_u64 s[14:15], s[6:7], s[2:3]
	s_delay_alu instid0(SALU_CYCLE_1) | instskip(NEXT) | instid1(SALU_CYCLE_1)
	s_lshl_b64 s[14:15], s[14:15], 1
	s_add_nc_u64 s[14:15], s[4:5], s[14:15]
	global_load_u16 v0, v1, s[14:15]
	s_wait_loadcnt 0x0
	s_wait_xcnt 0x0
	v_readfirstlane_b32 s14, v0
	s_cmp_neq_f16 s14, 0
	s_cselect_b32 s14, -1, 0
	s_delay_alu instid0(SALU_CYCLE_1) | instskip(NEXT) | instid1(SALU_CYCLE_1)
	s_and_b32 s15, vcc_lo, s14
	s_and_saveexec_b32 s14, s15
	s_cbranch_execz .LBB68_2
; %bb.4:                                ;   in Loop: Header=BB68_3 Depth=1
	s_lshl_b64 s[18:19], s[2:3], 3
	s_delay_alu instid0(SALU_CYCLE_1)
	s_add_nc_u64 s[20:21], s[12:13], s[18:19]
	s_add_nc_u64 s[18:19], s[8:9], s[18:19]
	s_load_b64 s[22:23], s[20:21], 0x0
	s_load_b64 s[24:25], s[18:19], 0x0
	s_wait_kmcnt 0x0
	s_wait_xcnt 0x0
	s_add_nc_u64 s[18:19], s[22:23], s[10:11]
	s_add_nc_u64 s[20:21], s[24:25], s[0:1]
	v_lshl_add_u64 v[6:7], v[4:5], 1, s[18:19]
	v_lshl_add_u64 v[8:9], v[2:3], 1, s[20:21]
	flat_load_u16 v10, v[6:7]
	flat_load_u16 v11, v[8:9]
	s_wait_loadcnt_dscnt 0x0
	v_fmac_f16_e32 v10, v0, v11
	flat_store_b16 v[6:7], v10
	s_branch .LBB68_2
.LBB68_5:
	s_endpgm
	.section	.rodata,"a",@progbits
	.p2align	6, 0x0
	.amdhsa_kernel _ZL19rocblas_axpy_kernelIiLi256EDF16_PKDF16_PKS1_PKPDF16_EviT2_lT3_lT_lT4_lS9_li
		.amdhsa_group_segment_fixed_size 0
		.amdhsa_private_segment_fixed_size 0
		.amdhsa_kernarg_size 92
		.amdhsa_user_sgpr_count 2
		.amdhsa_user_sgpr_dispatch_ptr 0
		.amdhsa_user_sgpr_queue_ptr 0
		.amdhsa_user_sgpr_kernarg_segment_ptr 1
		.amdhsa_user_sgpr_dispatch_id 0
		.amdhsa_user_sgpr_kernarg_preload_length 0
		.amdhsa_user_sgpr_kernarg_preload_offset 0
		.amdhsa_user_sgpr_private_segment_size 0
		.amdhsa_wavefront_size32 1
		.amdhsa_uses_dynamic_stack 0
		.amdhsa_enable_private_segment 0
		.amdhsa_system_sgpr_workgroup_id_x 1
		.amdhsa_system_sgpr_workgroup_id_y 0
		.amdhsa_system_sgpr_workgroup_id_z 1
		.amdhsa_system_sgpr_workgroup_info 0
		.amdhsa_system_vgpr_workitem_id 0
		.amdhsa_next_free_vgpr 12
		.amdhsa_next_free_sgpr 26
		.amdhsa_named_barrier_count 0
		.amdhsa_reserve_vcc 1
		.amdhsa_float_round_mode_32 0
		.amdhsa_float_round_mode_16_64 0
		.amdhsa_float_denorm_mode_32 3
		.amdhsa_float_denorm_mode_16_64 3
		.amdhsa_fp16_overflow 0
		.amdhsa_memory_ordered 1
		.amdhsa_forward_progress 1
		.amdhsa_inst_pref_size 4
		.amdhsa_round_robin_scheduling 0
		.amdhsa_exception_fp_ieee_invalid_op 0
		.amdhsa_exception_fp_denorm_src 0
		.amdhsa_exception_fp_ieee_div_zero 0
		.amdhsa_exception_fp_ieee_overflow 0
		.amdhsa_exception_fp_ieee_underflow 0
		.amdhsa_exception_fp_ieee_inexact 0
		.amdhsa_exception_int_div_zero 0
	.end_amdhsa_kernel
	.section	.text._ZL19rocblas_axpy_kernelIiLi256EDF16_PKDF16_PKS1_PKPDF16_EviT2_lT3_lT_lT4_lS9_li,"axG",@progbits,_ZL19rocblas_axpy_kernelIiLi256EDF16_PKDF16_PKS1_PKPDF16_EviT2_lT3_lT_lT4_lS9_li,comdat
.Lfunc_end68:
	.size	_ZL19rocblas_axpy_kernelIiLi256EDF16_PKDF16_PKS1_PKPDF16_EviT2_lT3_lT_lT4_lS9_li, .Lfunc_end68-_ZL19rocblas_axpy_kernelIiLi256EDF16_PKDF16_PKS1_PKPDF16_EviT2_lT3_lT_lT4_lS9_li
                                        ; -- End function
	.set _ZL19rocblas_axpy_kernelIiLi256EDF16_PKDF16_PKS1_PKPDF16_EviT2_lT3_lT_lT4_lS9_li.num_vgpr, 12
	.set _ZL19rocblas_axpy_kernelIiLi256EDF16_PKDF16_PKS1_PKPDF16_EviT2_lT3_lT_lT4_lS9_li.num_agpr, 0
	.set _ZL19rocblas_axpy_kernelIiLi256EDF16_PKDF16_PKS1_PKPDF16_EviT2_lT3_lT_lT4_lS9_li.numbered_sgpr, 26
	.set _ZL19rocblas_axpy_kernelIiLi256EDF16_PKDF16_PKS1_PKPDF16_EviT2_lT3_lT_lT4_lS9_li.num_named_barrier, 0
	.set _ZL19rocblas_axpy_kernelIiLi256EDF16_PKDF16_PKS1_PKPDF16_EviT2_lT3_lT_lT4_lS9_li.private_seg_size, 0
	.set _ZL19rocblas_axpy_kernelIiLi256EDF16_PKDF16_PKS1_PKPDF16_EviT2_lT3_lT_lT4_lS9_li.uses_vcc, 1
	.set _ZL19rocblas_axpy_kernelIiLi256EDF16_PKDF16_PKS1_PKPDF16_EviT2_lT3_lT_lT4_lS9_li.uses_flat_scratch, 0
	.set _ZL19rocblas_axpy_kernelIiLi256EDF16_PKDF16_PKS1_PKPDF16_EviT2_lT3_lT_lT4_lS9_li.has_dyn_sized_stack, 0
	.set _ZL19rocblas_axpy_kernelIiLi256EDF16_PKDF16_PKS1_PKPDF16_EviT2_lT3_lT_lT4_lS9_li.has_recursion, 0
	.set _ZL19rocblas_axpy_kernelIiLi256EDF16_PKDF16_PKS1_PKPDF16_EviT2_lT3_lT_lT4_lS9_li.has_indirect_call, 0
	.section	.AMDGPU.csdata,"",@progbits
; Kernel info:
; codeLenInByte = 420
; TotalNumSgprs: 28
; NumVgprs: 12
; ScratchSize: 0
; MemoryBound: 0
; FloatMode: 240
; IeeeMode: 1
; LDSByteSize: 0 bytes/workgroup (compile time only)
; SGPRBlocks: 0
; VGPRBlocks: 0
; NumSGPRsForWavesPerEU: 28
; NumVGPRsForWavesPerEU: 12
; NamedBarCnt: 0
; Occupancy: 16
; WaveLimiterHint : 1
; COMPUTE_PGM_RSRC2:SCRATCH_EN: 0
; COMPUTE_PGM_RSRC2:USER_SGPR: 2
; COMPUTE_PGM_RSRC2:TRAP_HANDLER: 0
; COMPUTE_PGM_RSRC2:TGID_X_EN: 1
; COMPUTE_PGM_RSRC2:TGID_Y_EN: 0
; COMPUTE_PGM_RSRC2:TGID_Z_EN: 1
; COMPUTE_PGM_RSRC2:TIDIG_COMP_CNT: 0
	.section	.text._ZL19rocblas_axpy_kernelIiLi256EDF16_DF16_PKPKDF16_PKPDF16_EviT2_lT3_lT_lT4_lS9_li,"axG",@progbits,_ZL19rocblas_axpy_kernelIiLi256EDF16_DF16_PKPKDF16_PKPDF16_EviT2_lT3_lT_lT4_lS9_li,comdat
	.globl	_ZL19rocblas_axpy_kernelIiLi256EDF16_DF16_PKPKDF16_PKPDF16_EviT2_lT3_lT_lT4_lS9_li ; -- Begin function _ZL19rocblas_axpy_kernelIiLi256EDF16_DF16_PKPKDF16_PKPDF16_EviT2_lT3_lT_lT4_lS9_li
	.p2align	8
	.type	_ZL19rocblas_axpy_kernelIiLi256EDF16_DF16_PKPKDF16_PKPDF16_EviT2_lT3_lT_lT4_lS9_li,@function
_ZL19rocblas_axpy_kernelIiLi256EDF16_DF16_PKPKDF16_PKPDF16_EviT2_lT3_lT_lT4_lS9_li: ; @_ZL19rocblas_axpy_kernelIiLi256EDF16_DF16_PKPKDF16_PKPDF16_EviT2_lT3_lT_lT4_lS9_li
; %bb.0:
	s_load_b32 s12, s[0:1], 0x50
	s_bfe_u32 s2, ttmp6, 0x40014
	s_lshr_b32 s3, ttmp7, 16
	s_add_co_i32 s2, s2, 1
	s_bfe_u32 s5, ttmp6, 0x40008
	s_mul_i32 s4, s3, s2
	s_getreg_b32 s2, hwreg(HW_REG_IB_STS2, 6, 4)
	s_add_co_i32 s5, s5, s4
	s_cmp_eq_u32 s2, 0
	s_cselect_b32 s13, s3, s5
	s_wait_kmcnt 0x0
	s_cmp_ge_u32 s13, s12
	s_cbranch_scc1 .LBB69_5
; %bb.1:
	s_clause 0x1
	s_load_b32 s4, s[0:1], 0x40
	s_load_b32 s6, s[0:1], 0x20
	s_bfe_u32 s3, ttmp6, 0x4000c
	s_and_b32 s5, ttmp6, 15
	s_add_co_i32 s3, s3, 1
	v_mov_b32_e32 v5, 0
	s_mul_i32 s3, ttmp9, s3
	s_delay_alu instid0(SALU_CYCLE_1)
	s_add_co_i32 s8, s5, s3
	s_wait_kmcnt 0x0
	s_ashr_i32 s5, s4, 31
	s_ashr_i32 s7, s6, 31
	s_cmp_eq_u32 s2, 0
	s_load_b64 s[2:3], s[0:1], 0x0
	s_cselect_b32 s8, ttmp9, s8
	s_delay_alu instid0(SALU_CYCLE_1) | instskip(NEXT) | instid1(VALU_DEP_1)
	v_lshl_or_b32 v4, s8, 8, v0
	v_mul_u64_e32 v[0:1], s[6:7], v[4:5]
	v_mul_u64_e32 v[2:3], s[4:5], v[4:5]
	s_clause 0x1
	s_load_b128 s[4:7], s[0:1], 0x10
	s_load_b128 s[8:11], s[0:1], 0x30
	s_wait_kmcnt 0x0
	s_cmp_neq_f16 s3, 0
	s_mov_b32 s0, s2
	s_cselect_b32 s14, -1, 0
	s_ashr_i32 s1, s2, 31
	s_delay_alu instid0(SALU_CYCLE_1)
	v_cmp_gt_i64_e32 vcc_lo, s[0:1], v[4:5]
	s_lshl_b64 s[0:1], s[6:7], 1
	s_lshl_b64 s[6:7], s[10:11], 1
	s_and_b32 s2, s14, vcc_lo
	s_branch .LBB69_3
.LBB69_2:                               ;   in Loop: Header=BB69_3 Depth=1
	s_wait_xcnt 0x0
	s_or_b32 exec_lo, exec_lo, s10
	s_add_co_i32 s13, s13, 0x10000
	s_delay_alu instid0(SALU_CYCLE_1)
	s_cmp_lt_u32 s13, s12
	s_cbranch_scc0 .LBB69_5
.LBB69_3:                               ; =>This Inner Loop Header: Depth=1
	s_and_saveexec_b32 s10, s2
	s_cbranch_execz .LBB69_2
; %bb.4:                                ;   in Loop: Header=BB69_3 Depth=1
	s_load_b64 s[14:15], s[8:9], s13 offset:0x0 scale_offset
	s_load_b64 s[16:17], s[4:5], s13 offset:0x0 scale_offset
	s_wait_kmcnt 0x0
	s_add_nc_u64 s[14:15], s[14:15], s[6:7]
	s_add_nc_u64 s[16:17], s[16:17], s[0:1]
	s_delay_alu instid0(VALU_DEP_2) | instskip(NEXT) | instid1(VALU_DEP_4)
	v_lshl_add_u64 v[4:5], v[2:3], 1, s[14:15]
	v_lshl_add_u64 v[6:7], v[0:1], 1, s[16:17]
	flat_load_u16 v8, v[4:5]
	flat_load_u16 v9, v[6:7]
	s_wait_loadcnt_dscnt 0x0
	v_fmac_f16_e32 v8, s3, v9
	flat_store_b16 v[4:5], v8
	s_branch .LBB69_2
.LBB69_5:
	s_endpgm
	.section	.rodata,"a",@progbits
	.p2align	6, 0x0
	.amdhsa_kernel _ZL19rocblas_axpy_kernelIiLi256EDF16_DF16_PKPKDF16_PKPDF16_EviT2_lT3_lT_lT4_lS9_li
		.amdhsa_group_segment_fixed_size 0
		.amdhsa_private_segment_fixed_size 0
		.amdhsa_kernarg_size 84
		.amdhsa_user_sgpr_count 2
		.amdhsa_user_sgpr_dispatch_ptr 0
		.amdhsa_user_sgpr_queue_ptr 0
		.amdhsa_user_sgpr_kernarg_segment_ptr 1
		.amdhsa_user_sgpr_dispatch_id 0
		.amdhsa_user_sgpr_kernarg_preload_length 0
		.amdhsa_user_sgpr_kernarg_preload_offset 0
		.amdhsa_user_sgpr_private_segment_size 0
		.amdhsa_wavefront_size32 1
		.amdhsa_uses_dynamic_stack 0
		.amdhsa_enable_private_segment 0
		.amdhsa_system_sgpr_workgroup_id_x 1
		.amdhsa_system_sgpr_workgroup_id_y 0
		.amdhsa_system_sgpr_workgroup_id_z 1
		.amdhsa_system_sgpr_workgroup_info 0
		.amdhsa_system_vgpr_workitem_id 0
		.amdhsa_next_free_vgpr 10
		.amdhsa_next_free_sgpr 18
		.amdhsa_named_barrier_count 0
		.amdhsa_reserve_vcc 1
		.amdhsa_float_round_mode_32 0
		.amdhsa_float_round_mode_16_64 0
		.amdhsa_float_denorm_mode_32 3
		.amdhsa_float_denorm_mode_16_64 3
		.amdhsa_fp16_overflow 0
		.amdhsa_memory_ordered 1
		.amdhsa_forward_progress 1
		.amdhsa_inst_pref_size 3
		.amdhsa_round_robin_scheduling 0
		.amdhsa_exception_fp_ieee_invalid_op 0
		.amdhsa_exception_fp_denorm_src 0
		.amdhsa_exception_fp_ieee_div_zero 0
		.amdhsa_exception_fp_ieee_overflow 0
		.amdhsa_exception_fp_ieee_underflow 0
		.amdhsa_exception_fp_ieee_inexact 0
		.amdhsa_exception_int_div_zero 0
	.end_amdhsa_kernel
	.section	.text._ZL19rocblas_axpy_kernelIiLi256EDF16_DF16_PKPKDF16_PKPDF16_EviT2_lT3_lT_lT4_lS9_li,"axG",@progbits,_ZL19rocblas_axpy_kernelIiLi256EDF16_DF16_PKPKDF16_PKPDF16_EviT2_lT3_lT_lT4_lS9_li,comdat
.Lfunc_end69:
	.size	_ZL19rocblas_axpy_kernelIiLi256EDF16_DF16_PKPKDF16_PKPDF16_EviT2_lT3_lT_lT4_lS9_li, .Lfunc_end69-_ZL19rocblas_axpy_kernelIiLi256EDF16_DF16_PKPKDF16_PKPDF16_EviT2_lT3_lT_lT4_lS9_li
                                        ; -- End function
	.set _ZL19rocblas_axpy_kernelIiLi256EDF16_DF16_PKPKDF16_PKPDF16_EviT2_lT3_lT_lT4_lS9_li.num_vgpr, 10
	.set _ZL19rocblas_axpy_kernelIiLi256EDF16_DF16_PKPKDF16_PKPDF16_EviT2_lT3_lT_lT4_lS9_li.num_agpr, 0
	.set _ZL19rocblas_axpy_kernelIiLi256EDF16_DF16_PKPKDF16_PKPDF16_EviT2_lT3_lT_lT4_lS9_li.numbered_sgpr, 18
	.set _ZL19rocblas_axpy_kernelIiLi256EDF16_DF16_PKPKDF16_PKPDF16_EviT2_lT3_lT_lT4_lS9_li.num_named_barrier, 0
	.set _ZL19rocblas_axpy_kernelIiLi256EDF16_DF16_PKPKDF16_PKPDF16_EviT2_lT3_lT_lT4_lS9_li.private_seg_size, 0
	.set _ZL19rocblas_axpy_kernelIiLi256EDF16_DF16_PKPKDF16_PKPDF16_EviT2_lT3_lT_lT4_lS9_li.uses_vcc, 1
	.set _ZL19rocblas_axpy_kernelIiLi256EDF16_DF16_PKPKDF16_PKPDF16_EviT2_lT3_lT_lT4_lS9_li.uses_flat_scratch, 0
	.set _ZL19rocblas_axpy_kernelIiLi256EDF16_DF16_PKPKDF16_PKPDF16_EviT2_lT3_lT_lT4_lS9_li.has_dyn_sized_stack, 0
	.set _ZL19rocblas_axpy_kernelIiLi256EDF16_DF16_PKPKDF16_PKPDF16_EviT2_lT3_lT_lT4_lS9_li.has_recursion, 0
	.set _ZL19rocblas_axpy_kernelIiLi256EDF16_DF16_PKPKDF16_PKPDF16_EviT2_lT3_lT_lT4_lS9_li.has_indirect_call, 0
	.section	.AMDGPU.csdata,"",@progbits
; Kernel info:
; codeLenInByte = 364
; TotalNumSgprs: 20
; NumVgprs: 10
; ScratchSize: 0
; MemoryBound: 0
; FloatMode: 240
; IeeeMode: 1
; LDSByteSize: 0 bytes/workgroup (compile time only)
; SGPRBlocks: 0
; VGPRBlocks: 0
; NumSGPRsForWavesPerEU: 20
; NumVGPRsForWavesPerEU: 10
; NamedBarCnt: 0
; Occupancy: 16
; WaveLimiterHint : 1
; COMPUTE_PGM_RSRC2:SCRATCH_EN: 0
; COMPUTE_PGM_RSRC2:USER_SGPR: 2
; COMPUTE_PGM_RSRC2:TRAP_HANDLER: 0
; COMPUTE_PGM_RSRC2:TGID_X_EN: 1
; COMPUTE_PGM_RSRC2:TGID_Y_EN: 0
; COMPUTE_PGM_RSRC2:TGID_Z_EN: 1
; COMPUTE_PGM_RSRC2:TIDIG_COMP_CNT: 0
	.section	.text._ZL19rocblas_axpy_kernelIlLi256EDF16_PKDF16_PKS1_PKPDF16_EviT2_lT3_lT_lT4_lS9_li,"axG",@progbits,_ZL19rocblas_axpy_kernelIlLi256EDF16_PKDF16_PKS1_PKPDF16_EviT2_lT3_lT_lT4_lS9_li,comdat
	.globl	_ZL19rocblas_axpy_kernelIlLi256EDF16_PKDF16_PKS1_PKPDF16_EviT2_lT3_lT_lT4_lS9_li ; -- Begin function _ZL19rocblas_axpy_kernelIlLi256EDF16_PKDF16_PKS1_PKPDF16_EviT2_lT3_lT_lT4_lS9_li
	.p2align	8
	.type	_ZL19rocblas_axpy_kernelIlLi256EDF16_PKDF16_PKS1_PKPDF16_EviT2_lT3_lT_lT4_lS9_li,@function
_ZL19rocblas_axpy_kernelIlLi256EDF16_PKDF16_PKS1_PKPDF16_EviT2_lT3_lT_lT4_lS9_li: ; @_ZL19rocblas_axpy_kernelIlLi256EDF16_PKDF16_PKS1_PKPDF16_EviT2_lT3_lT_lT4_lS9_li
; %bb.0:
	s_load_b32 s14, s[0:1], 0x58
	s_bfe_u32 s2, ttmp6, 0x40014
	s_lshr_b32 s3, ttmp7, 16
	s_add_co_i32 s2, s2, 1
	s_bfe_u32 s4, ttmp6, 0x40008
	s_mul_i32 s2, s3, s2
	s_getreg_b32 s8, hwreg(HW_REG_IB_STS2, 6, 4)
	s_add_co_i32 s4, s4, s2
	s_cmp_eq_u32 s8, 0
	s_cselect_b32 s2, s3, s4
	s_mov_b32 s3, 0
	s_wait_kmcnt 0x0
	s_cmp_ge_u32 s2, s14
	s_cbranch_scc1 .LBB70_5
; %bb.1:
	s_clause 0x2
	s_load_b32 s12, s[0:1], 0x0
	s_load_b128 s[16:19], s[0:1], 0x20
	s_load_b128 s[20:23], s[0:1], 0x40
	s_bfe_u32 s4, ttmp6, 0x4000c
	s_and_b32 s9, ttmp6, 15
	s_add_co_i32 s4, s4, 1
	v_mov_b32_e32 v1, 0
	s_mul_i32 s10, ttmp9, s4
	s_load_b128 s[4:7], s[0:1], 0x8
	s_add_co_i32 s9, s9, s10
	s_wait_kmcnt 0x0
	s_ashr_i32 s13, s12, 31
	s_cmp_eq_u32 s8, 0
	s_cselect_b32 s8, ttmp9, s9
	s_delay_alu instid0(SALU_CYCLE_1)
	v_lshl_or_b32 v0, s8, 8, v0
	s_clause 0x1
	s_load_b64 s[8:9], s[0:1], 0x18
	s_load_b64 s[10:11], s[0:1], 0x38
	s_wait_xcnt 0x0
	s_lshl_b64 s[0:1], s[16:17], 1
	v_mul_u64_e32 v[2:3], s[18:19], v[0:1]
	v_mul_u64_e32 v[4:5], s[22:23], v[0:1]
	v_cmp_gt_i64_e32 vcc_lo, s[12:13], v[0:1]
	s_lshl_b64 s[12:13], s[20:21], 1
	s_branch .LBB70_3
.LBB70_2:                               ;   in Loop: Header=BB70_3 Depth=1
	s_wait_xcnt 0x0
	s_or_b32 exec_lo, exec_lo, s15
	s_add_co_i32 s2, s2, 0x10000
	s_delay_alu instid0(SALU_CYCLE_1)
	s_cmp_lt_u32 s2, s14
	s_cbranch_scc0 .LBB70_5
.LBB70_3:                               ; =>This Inner Loop Header: Depth=1
	s_mul_u64 s[16:17], s[6:7], s[2:3]
	s_delay_alu instid0(SALU_CYCLE_1) | instskip(NEXT) | instid1(SALU_CYCLE_1)
	s_lshl_b64 s[16:17], s[16:17], 1
	s_add_nc_u64 s[16:17], s[4:5], s[16:17]
	global_load_u16 v0, v1, s[16:17]
	s_wait_loadcnt 0x0
	v_readfirstlane_b32 s15, v0
	s_cmp_neq_f16 s15, 0
	s_cselect_b32 s15, -1, 0
	s_wait_xcnt 0x0
	s_and_b32 s16, vcc_lo, s15
	s_delay_alu instid0(SALU_CYCLE_1)
	s_and_saveexec_b32 s15, s16
	s_cbranch_execz .LBB70_2
; %bb.4:                                ;   in Loop: Header=BB70_3 Depth=1
	s_lshl_b64 s[16:17], s[2:3], 3
	s_wait_kmcnt 0x0
	s_add_nc_u64 s[18:19], s[10:11], s[16:17]
	s_add_nc_u64 s[16:17], s[8:9], s[16:17]
	s_load_b64 s[20:21], s[18:19], 0x0
	s_load_b64 s[22:23], s[16:17], 0x0
	s_wait_kmcnt 0x0
	s_wait_xcnt 0x0
	s_add_nc_u64 s[16:17], s[20:21], s[12:13]
	s_add_nc_u64 s[18:19], s[22:23], s[0:1]
	v_lshl_add_u64 v[6:7], v[4:5], 1, s[16:17]
	v_lshl_add_u64 v[8:9], v[2:3], 1, s[18:19]
	flat_load_u16 v10, v[6:7]
	flat_load_u16 v11, v[8:9]
	s_wait_loadcnt_dscnt 0x0
	v_fmac_f16_e32 v10, v0, v11
	flat_store_b16 v[6:7], v10
	s_branch .LBB70_2
.LBB70_5:
	s_endpgm
	.section	.rodata,"a",@progbits
	.p2align	6, 0x0
	.amdhsa_kernel _ZL19rocblas_axpy_kernelIlLi256EDF16_PKDF16_PKS1_PKPDF16_EviT2_lT3_lT_lT4_lS9_li
		.amdhsa_group_segment_fixed_size 0
		.amdhsa_private_segment_fixed_size 0
		.amdhsa_kernarg_size 92
		.amdhsa_user_sgpr_count 2
		.amdhsa_user_sgpr_dispatch_ptr 0
		.amdhsa_user_sgpr_queue_ptr 0
		.amdhsa_user_sgpr_kernarg_segment_ptr 1
		.amdhsa_user_sgpr_dispatch_id 0
		.amdhsa_user_sgpr_kernarg_preload_length 0
		.amdhsa_user_sgpr_kernarg_preload_offset 0
		.amdhsa_user_sgpr_private_segment_size 0
		.amdhsa_wavefront_size32 1
		.amdhsa_uses_dynamic_stack 0
		.amdhsa_enable_private_segment 0
		.amdhsa_system_sgpr_workgroup_id_x 1
		.amdhsa_system_sgpr_workgroup_id_y 0
		.amdhsa_system_sgpr_workgroup_id_z 1
		.amdhsa_system_sgpr_workgroup_info 0
		.amdhsa_system_vgpr_workitem_id 0
		.amdhsa_next_free_vgpr 12
		.amdhsa_next_free_sgpr 24
		.amdhsa_named_barrier_count 0
		.amdhsa_reserve_vcc 1
		.amdhsa_float_round_mode_32 0
		.amdhsa_float_round_mode_16_64 0
		.amdhsa_float_denorm_mode_32 3
		.amdhsa_float_denorm_mode_16_64 3
		.amdhsa_fp16_overflow 0
		.amdhsa_memory_ordered 1
		.amdhsa_forward_progress 1
		.amdhsa_inst_pref_size 4
		.amdhsa_round_robin_scheduling 0
		.amdhsa_exception_fp_ieee_invalid_op 0
		.amdhsa_exception_fp_denorm_src 0
		.amdhsa_exception_fp_ieee_div_zero 0
		.amdhsa_exception_fp_ieee_overflow 0
		.amdhsa_exception_fp_ieee_underflow 0
		.amdhsa_exception_fp_ieee_inexact 0
		.amdhsa_exception_int_div_zero 0
	.end_amdhsa_kernel
	.section	.text._ZL19rocblas_axpy_kernelIlLi256EDF16_PKDF16_PKS1_PKPDF16_EviT2_lT3_lT_lT4_lS9_li,"axG",@progbits,_ZL19rocblas_axpy_kernelIlLi256EDF16_PKDF16_PKS1_PKPDF16_EviT2_lT3_lT_lT4_lS9_li,comdat
.Lfunc_end70:
	.size	_ZL19rocblas_axpy_kernelIlLi256EDF16_PKDF16_PKS1_PKPDF16_EviT2_lT3_lT_lT4_lS9_li, .Lfunc_end70-_ZL19rocblas_axpy_kernelIlLi256EDF16_PKDF16_PKS1_PKPDF16_EviT2_lT3_lT_lT4_lS9_li
                                        ; -- End function
	.set _ZL19rocblas_axpy_kernelIlLi256EDF16_PKDF16_PKS1_PKPDF16_EviT2_lT3_lT_lT4_lS9_li.num_vgpr, 12
	.set _ZL19rocblas_axpy_kernelIlLi256EDF16_PKDF16_PKS1_PKPDF16_EviT2_lT3_lT_lT4_lS9_li.num_agpr, 0
	.set _ZL19rocblas_axpy_kernelIlLi256EDF16_PKDF16_PKS1_PKPDF16_EviT2_lT3_lT_lT4_lS9_li.numbered_sgpr, 24
	.set _ZL19rocblas_axpy_kernelIlLi256EDF16_PKDF16_PKS1_PKPDF16_EviT2_lT3_lT_lT4_lS9_li.num_named_barrier, 0
	.set _ZL19rocblas_axpy_kernelIlLi256EDF16_PKDF16_PKS1_PKPDF16_EviT2_lT3_lT_lT4_lS9_li.private_seg_size, 0
	.set _ZL19rocblas_axpy_kernelIlLi256EDF16_PKDF16_PKS1_PKPDF16_EviT2_lT3_lT_lT4_lS9_li.uses_vcc, 1
	.set _ZL19rocblas_axpy_kernelIlLi256EDF16_PKDF16_PKS1_PKPDF16_EviT2_lT3_lT_lT4_lS9_li.uses_flat_scratch, 0
	.set _ZL19rocblas_axpy_kernelIlLi256EDF16_PKDF16_PKS1_PKPDF16_EviT2_lT3_lT_lT4_lS9_li.has_dyn_sized_stack, 0
	.set _ZL19rocblas_axpy_kernelIlLi256EDF16_PKDF16_PKS1_PKPDF16_EviT2_lT3_lT_lT4_lS9_li.has_recursion, 0
	.set _ZL19rocblas_axpy_kernelIlLi256EDF16_PKDF16_PKS1_PKPDF16_EviT2_lT3_lT_lT4_lS9_li.has_indirect_call, 0
	.section	.AMDGPU.csdata,"",@progbits
; Kernel info:
; codeLenInByte = 416
; TotalNumSgprs: 26
; NumVgprs: 12
; ScratchSize: 0
; MemoryBound: 0
; FloatMode: 240
; IeeeMode: 1
; LDSByteSize: 0 bytes/workgroup (compile time only)
; SGPRBlocks: 0
; VGPRBlocks: 0
; NumSGPRsForWavesPerEU: 26
; NumVGPRsForWavesPerEU: 12
; NamedBarCnt: 0
; Occupancy: 16
; WaveLimiterHint : 1
; COMPUTE_PGM_RSRC2:SCRATCH_EN: 0
; COMPUTE_PGM_RSRC2:USER_SGPR: 2
; COMPUTE_PGM_RSRC2:TRAP_HANDLER: 0
; COMPUTE_PGM_RSRC2:TGID_X_EN: 1
; COMPUTE_PGM_RSRC2:TGID_Y_EN: 0
; COMPUTE_PGM_RSRC2:TGID_Z_EN: 1
; COMPUTE_PGM_RSRC2:TIDIG_COMP_CNT: 0
	.section	.text._ZL19rocblas_axpy_kernelIlLi256EDF16_DF16_PKPKDF16_PKPDF16_EviT2_lT3_lT_lT4_lS9_li,"axG",@progbits,_ZL19rocblas_axpy_kernelIlLi256EDF16_DF16_PKPKDF16_PKPDF16_EviT2_lT3_lT_lT4_lS9_li,comdat
	.globl	_ZL19rocblas_axpy_kernelIlLi256EDF16_DF16_PKPKDF16_PKPDF16_EviT2_lT3_lT_lT4_lS9_li ; -- Begin function _ZL19rocblas_axpy_kernelIlLi256EDF16_DF16_PKPKDF16_PKPDF16_EviT2_lT3_lT_lT4_lS9_li
	.p2align	8
	.type	_ZL19rocblas_axpy_kernelIlLi256EDF16_DF16_PKPKDF16_PKPDF16_EviT2_lT3_lT_lT4_lS9_li,@function
_ZL19rocblas_axpy_kernelIlLi256EDF16_DF16_PKPKDF16_PKPDF16_EviT2_lT3_lT_lT4_lS9_li: ; @_ZL19rocblas_axpy_kernelIlLi256EDF16_DF16_PKPKDF16_PKPDF16_EviT2_lT3_lT_lT4_lS9_li
; %bb.0:
	s_load_b32 s10, s[0:1], 0x50
	s_bfe_u32 s2, ttmp6, 0x40014
	s_lshr_b32 s3, ttmp7, 16
	s_add_co_i32 s2, s2, 1
	s_bfe_u32 s5, ttmp6, 0x40008
	s_mul_i32 s4, s3, s2
	s_getreg_b32 s2, hwreg(HW_REG_IB_STS2, 6, 4)
	s_add_co_i32 s5, s5, s4
	s_cmp_eq_u32 s2, 0
	s_cselect_b32 s11, s3, s5
	s_wait_kmcnt 0x0
	s_cmp_ge_u32 s11, s10
	s_cbranch_scc1 .LBB71_5
; %bb.1:
	s_clause 0x1
	s_load_b128 s[12:15], s[0:1], 0x18
	s_load_b128 s[16:19], s[0:1], 0x38
	s_bfe_u32 s3, ttmp6, 0x4000c
	s_and_b32 s4, ttmp6, 15
	s_add_co_i32 s3, s3, 1
	v_mov_b32_e32 v5, 0
	s_mul_i32 s3, ttmp9, s3
	s_delay_alu instid0(SALU_CYCLE_1) | instskip(SKIP_3) | instid1(SALU_CYCLE_1)
	s_add_co_i32 s4, s4, s3
	s_cmp_eq_u32 s2, 0
	s_load_b64 s[2:3], s[0:1], 0x0
	s_cselect_b32 s4, ttmp9, s4
	v_lshl_or_b32 v4, s4, 8, v0
	s_clause 0x1
	s_load_b64 s[4:5], s[0:1], 0x10
	s_load_b64 s[6:7], s[0:1], 0x30
	s_wait_kmcnt 0x0
	v_mul_u64_e32 v[0:1], s[14:15], v[4:5]
	v_mul_u64_e32 v[2:3], s[18:19], v[4:5]
	s_cmp_neq_f16 s3, 0
	s_mov_b32 s0, s2
	s_cselect_b32 s8, -1, 0
	s_ashr_i32 s1, s2, 31
	s_delay_alu instid0(SALU_CYCLE_1)
	v_cmp_gt_i64_e32 vcc_lo, s[0:1], v[4:5]
	s_lshl_b64 s[0:1], s[12:13], 1
	s_and_b32 s2, s8, vcc_lo
	s_lshl_b64 s[8:9], s[16:17], 1
	s_branch .LBB71_3
.LBB71_2:                               ;   in Loop: Header=BB71_3 Depth=1
	s_wait_xcnt 0x0
	s_or_b32 exec_lo, exec_lo, s12
	s_add_co_i32 s11, s11, 0x10000
	s_delay_alu instid0(SALU_CYCLE_1)
	s_cmp_lt_u32 s11, s10
	s_cbranch_scc0 .LBB71_5
.LBB71_3:                               ; =>This Inner Loop Header: Depth=1
	s_and_saveexec_b32 s12, s2
	s_cbranch_execz .LBB71_2
; %bb.4:                                ;   in Loop: Header=BB71_3 Depth=1
	s_load_b64 s[14:15], s[6:7], s11 offset:0x0 scale_offset
	s_load_b64 s[16:17], s[4:5], s11 offset:0x0 scale_offset
	s_wait_kmcnt 0x0
	s_add_nc_u64 s[14:15], s[14:15], s[8:9]
	s_add_nc_u64 s[16:17], s[16:17], s[0:1]
	s_delay_alu instid0(VALU_DEP_2) | instskip(NEXT) | instid1(VALU_DEP_4)
	v_lshl_add_u64 v[4:5], v[2:3], 1, s[14:15]
	v_lshl_add_u64 v[6:7], v[0:1], 1, s[16:17]
	flat_load_u16 v8, v[4:5]
	flat_load_u16 v9, v[6:7]
	s_wait_loadcnt_dscnt 0x0
	v_fmac_f16_e32 v8, s3, v9
	flat_store_b16 v[4:5], v8
	s_branch .LBB71_2
.LBB71_5:
	s_endpgm
	.section	.rodata,"a",@progbits
	.p2align	6, 0x0
	.amdhsa_kernel _ZL19rocblas_axpy_kernelIlLi256EDF16_DF16_PKPKDF16_PKPDF16_EviT2_lT3_lT_lT4_lS9_li
		.amdhsa_group_segment_fixed_size 0
		.amdhsa_private_segment_fixed_size 0
		.amdhsa_kernarg_size 84
		.amdhsa_user_sgpr_count 2
		.amdhsa_user_sgpr_dispatch_ptr 0
		.amdhsa_user_sgpr_queue_ptr 0
		.amdhsa_user_sgpr_kernarg_segment_ptr 1
		.amdhsa_user_sgpr_dispatch_id 0
		.amdhsa_user_sgpr_kernarg_preload_length 0
		.amdhsa_user_sgpr_kernarg_preload_offset 0
		.amdhsa_user_sgpr_private_segment_size 0
		.amdhsa_wavefront_size32 1
		.amdhsa_uses_dynamic_stack 0
		.amdhsa_enable_private_segment 0
		.amdhsa_system_sgpr_workgroup_id_x 1
		.amdhsa_system_sgpr_workgroup_id_y 0
		.amdhsa_system_sgpr_workgroup_id_z 1
		.amdhsa_system_sgpr_workgroup_info 0
		.amdhsa_system_vgpr_workitem_id 0
		.amdhsa_next_free_vgpr 10
		.amdhsa_next_free_sgpr 20
		.amdhsa_named_barrier_count 0
		.amdhsa_reserve_vcc 1
		.amdhsa_float_round_mode_32 0
		.amdhsa_float_round_mode_16_64 0
		.amdhsa_float_denorm_mode_32 3
		.amdhsa_float_denorm_mode_16_64 3
		.amdhsa_fp16_overflow 0
		.amdhsa_memory_ordered 1
		.amdhsa_forward_progress 1
		.amdhsa_inst_pref_size 3
		.amdhsa_round_robin_scheduling 0
		.amdhsa_exception_fp_ieee_invalid_op 0
		.amdhsa_exception_fp_denorm_src 0
		.amdhsa_exception_fp_ieee_div_zero 0
		.amdhsa_exception_fp_ieee_overflow 0
		.amdhsa_exception_fp_ieee_underflow 0
		.amdhsa_exception_fp_ieee_inexact 0
		.amdhsa_exception_int_div_zero 0
	.end_amdhsa_kernel
	.section	.text._ZL19rocblas_axpy_kernelIlLi256EDF16_DF16_PKPKDF16_PKPDF16_EviT2_lT3_lT_lT4_lS9_li,"axG",@progbits,_ZL19rocblas_axpy_kernelIlLi256EDF16_DF16_PKPKDF16_PKPDF16_EviT2_lT3_lT_lT4_lS9_li,comdat
.Lfunc_end71:
	.size	_ZL19rocblas_axpy_kernelIlLi256EDF16_DF16_PKPKDF16_PKPDF16_EviT2_lT3_lT_lT4_lS9_li, .Lfunc_end71-_ZL19rocblas_axpy_kernelIlLi256EDF16_DF16_PKPKDF16_PKPDF16_EviT2_lT3_lT_lT4_lS9_li
                                        ; -- End function
	.set _ZL19rocblas_axpy_kernelIlLi256EDF16_DF16_PKPKDF16_PKPDF16_EviT2_lT3_lT_lT4_lS9_li.num_vgpr, 10
	.set _ZL19rocblas_axpy_kernelIlLi256EDF16_DF16_PKPKDF16_PKPDF16_EviT2_lT3_lT_lT4_lS9_li.num_agpr, 0
	.set _ZL19rocblas_axpy_kernelIlLi256EDF16_DF16_PKPKDF16_PKPDF16_EviT2_lT3_lT_lT4_lS9_li.numbered_sgpr, 20
	.set _ZL19rocblas_axpy_kernelIlLi256EDF16_DF16_PKPKDF16_PKPDF16_EviT2_lT3_lT_lT4_lS9_li.num_named_barrier, 0
	.set _ZL19rocblas_axpy_kernelIlLi256EDF16_DF16_PKPKDF16_PKPDF16_EviT2_lT3_lT_lT4_lS9_li.private_seg_size, 0
	.set _ZL19rocblas_axpy_kernelIlLi256EDF16_DF16_PKPKDF16_PKPDF16_EviT2_lT3_lT_lT4_lS9_li.uses_vcc, 1
	.set _ZL19rocblas_axpy_kernelIlLi256EDF16_DF16_PKPKDF16_PKPDF16_EviT2_lT3_lT_lT4_lS9_li.uses_flat_scratch, 0
	.set _ZL19rocblas_axpy_kernelIlLi256EDF16_DF16_PKPKDF16_PKPDF16_EviT2_lT3_lT_lT4_lS9_li.has_dyn_sized_stack, 0
	.set _ZL19rocblas_axpy_kernelIlLi256EDF16_DF16_PKPKDF16_PKPDF16_EviT2_lT3_lT_lT4_lS9_li.has_recursion, 0
	.set _ZL19rocblas_axpy_kernelIlLi256EDF16_DF16_PKPKDF16_PKPDF16_EviT2_lT3_lT_lT4_lS9_li.has_indirect_call, 0
	.section	.AMDGPU.csdata,"",@progbits
; Kernel info:
; codeLenInByte = 348
; TotalNumSgprs: 22
; NumVgprs: 10
; ScratchSize: 0
; MemoryBound: 0
; FloatMode: 240
; IeeeMode: 1
; LDSByteSize: 0 bytes/workgroup (compile time only)
; SGPRBlocks: 0
; VGPRBlocks: 0
; NumSGPRsForWavesPerEU: 22
; NumVGPRsForWavesPerEU: 10
; NamedBarCnt: 0
; Occupancy: 16
; WaveLimiterHint : 1
; COMPUTE_PGM_RSRC2:SCRATCH_EN: 0
; COMPUTE_PGM_RSRC2:USER_SGPR: 2
; COMPUTE_PGM_RSRC2:TRAP_HANDLER: 0
; COMPUTE_PGM_RSRC2:TGID_X_EN: 1
; COMPUTE_PGM_RSRC2:TGID_Y_EN: 0
; COMPUTE_PGM_RSRC2:TGID_Z_EN: 1
; COMPUTE_PGM_RSRC2:TIDIG_COMP_CNT: 0
	.section	.text._ZL26rocblas_haxpy_mlt_8_kernelILi256EPKDF16_PKPKfPKPfEviT0_lT1_llT2_lli,"axG",@progbits,_ZL26rocblas_haxpy_mlt_8_kernelILi256EPKDF16_PKPKfPKPfEviT0_lT1_llT2_lli,comdat
	.globl	_ZL26rocblas_haxpy_mlt_8_kernelILi256EPKDF16_PKPKfPKPfEviT0_lT1_llT2_lli ; -- Begin function _ZL26rocblas_haxpy_mlt_8_kernelILi256EPKDF16_PKPKfPKPfEviT0_lT1_llT2_lli
	.p2align	8
	.type	_ZL26rocblas_haxpy_mlt_8_kernelILi256EPKDF16_PKPKfPKPfEviT0_lT1_llT2_lli,@function
_ZL26rocblas_haxpy_mlt_8_kernelILi256EPKDF16_PKPKfPKPfEviT0_lT1_llT2_lli: ; @_ZL26rocblas_haxpy_mlt_8_kernelILi256EPKDF16_PKPKfPKPfEviT0_lT1_llT2_lli
; %bb.0:
	s_load_b32 s14, s[0:1], 0x48
	s_bfe_u32 s2, ttmp6, 0x40014
	s_lshr_b32 s3, ttmp7, 16
	s_add_co_i32 s2, s2, 1
	s_bfe_u32 s5, ttmp6, 0x40008
	s_mul_i32 s4, s3, s2
	s_getreg_b32 s2, hwreg(HW_REG_IB_STS2, 6, 4)
	s_add_co_i32 s5, s5, s4
	s_cmp_eq_u32 s2, 0
	s_mov_b32 s13, 0
	s_cselect_b32 s12, s3, s5
	s_wait_kmcnt 0x0
	s_cmp_ge_u32 s12, s14
	s_cbranch_scc1 .LBB72_5
; %bb.1:
	s_load_b32 s16, s[0:1], 0x0
	s_bfe_u32 s3, ttmp6, 0x4000c
	s_and_b32 s15, ttmp6, 15
	s_add_co_i32 s3, s3, 1
	s_load_b256 s[4:11], s[0:1], 0x8
	s_mul_i32 s3, ttmp9, s3
	v_mov_b32_e32 v1, 0
	s_add_co_i32 s15, s15, s3
	s_wait_kmcnt 0x0
	s_ashr_i32 s17, s16, 31
	s_cmp_eq_u32 s2, 0
	s_load_b128 s[0:3], s[0:1], 0x30
	s_cselect_b32 s15, ttmp9, s15
	s_lshl_b64 s[10:11], s[10:11], 2
	v_lshl_or_b32 v0, s15, 8, v0
	s_delay_alu instid0(VALU_DEP_1) | instskip(NEXT) | instid1(VALU_DEP_1)
	v_lshlrev_b64_e32 v[2:3], 3, v[0:1]
	v_cmp_le_i64_e32 vcc_lo, s[16:17], v[2:3]
	v_lshlrev_b64_e32 v[2:3], 2, v[2:3]
	s_wait_kmcnt 0x0
	s_lshl_b64 s[2:3], s[2:3], 2
	s_xor_b32 s15, vcc_lo, -1
	s_branch .LBB72_3
.LBB72_2:                               ;   in Loop: Header=BB72_3 Depth=1
	s_wait_xcnt 0x0
	s_or_b32 exec_lo, exec_lo, s16
	s_add_co_i32 s12, s12, 0x10000
	s_delay_alu instid0(SALU_CYCLE_1)
	s_cmp_lt_u32 s12, s14
	s_cbranch_scc0 .LBB72_5
.LBB72_3:                               ; =>This Inner Loop Header: Depth=1
	s_mul_u64 s[16:17], s[6:7], s[12:13]
	s_delay_alu instid0(SALU_CYCLE_1) | instskip(NEXT) | instid1(SALU_CYCLE_1)
	s_lshl_b64 s[16:17], s[16:17], 1
	s_add_nc_u64 s[16:17], s[4:5], s[16:17]
	global_load_u16 v0, v1, s[16:17]
	s_wait_loadcnt 0x0
	s_wait_xcnt 0x0
	v_readfirstlane_b32 s16, v0
	s_pack_ll_b32_b16 s16, s16, s16
	s_delay_alu instid0(SALU_CYCLE_1) | instskip(NEXT) | instid1(SALU_CYCLE_1)
	s_and_b32 s16, s16, 0x7fff
	s_cmp_lg_u32 s16, 0
	s_cselect_b32 s16, -1, 0
	s_delay_alu instid0(SALU_CYCLE_1) | instskip(NEXT) | instid1(SALU_CYCLE_1)
	s_and_b32 s17, s16, s15
	s_and_saveexec_b32 s16, s17
	s_cbranch_execz .LBB72_2
; %bb.4:                                ;   in Loop: Header=BB72_3 Depth=1
	s_lshl_b64 s[18:19], s[12:13], 3
	s_delay_alu instid0(SALU_CYCLE_1)
	s_add_nc_u64 s[20:21], s[0:1], s[18:19]
	s_add_nc_u64 s[18:19], s[8:9], s[18:19]
	s_clause 0x1
	global_load_b64 v[4:5], v1, s[20:21]
	global_load_b64 v[6:7], v1, s[18:19]
	s_wait_loadcnt 0x1
	v_add_nc_u64_e32 v[4:5], s[2:3], v[4:5]
	s_wait_loadcnt 0x0
	v_add_nc_u64_e32 v[6:7], s[10:11], v[6:7]
	s_delay_alu instid0(VALU_DEP_2) | instskip(NEXT) | instid1(VALU_DEP_2)
	v_add_nc_u64_e32 v[12:13], v[4:5], v[2:3]
	v_add_nc_u64_e32 v[14:15], v[6:7], v[2:3]
	flat_load_b128 v[4:7], v[12:13]
	flat_load_b128 v[8:11], v[14:15]
	s_wait_loadcnt_dscnt 0x0
	v_pk_fma_f16 v7, v0, v11, v7 op_sel_hi:[0,1,1]
	v_pk_fma_f16 v6, v0, v10, v6 op_sel_hi:[0,1,1]
	;; [unrolled: 1-line block ×4, first 2 shown]
	flat_store_b128 v[12:13], v[4:7]
	s_branch .LBB72_2
.LBB72_5:
	s_endpgm
	.section	.rodata,"a",@progbits
	.p2align	6, 0x0
	.amdhsa_kernel _ZL26rocblas_haxpy_mlt_8_kernelILi256EPKDF16_PKPKfPKPfEviT0_lT1_llT2_lli
		.amdhsa_group_segment_fixed_size 0
		.amdhsa_private_segment_fixed_size 0
		.amdhsa_kernarg_size 76
		.amdhsa_user_sgpr_count 2
		.amdhsa_user_sgpr_dispatch_ptr 0
		.amdhsa_user_sgpr_queue_ptr 0
		.amdhsa_user_sgpr_kernarg_segment_ptr 1
		.amdhsa_user_sgpr_dispatch_id 0
		.amdhsa_user_sgpr_kernarg_preload_length 0
		.amdhsa_user_sgpr_kernarg_preload_offset 0
		.amdhsa_user_sgpr_private_segment_size 0
		.amdhsa_wavefront_size32 1
		.amdhsa_uses_dynamic_stack 0
		.amdhsa_enable_private_segment 0
		.amdhsa_system_sgpr_workgroup_id_x 1
		.amdhsa_system_sgpr_workgroup_id_y 0
		.amdhsa_system_sgpr_workgroup_id_z 1
		.amdhsa_system_sgpr_workgroup_info 0
		.amdhsa_system_vgpr_workitem_id 0
		.amdhsa_next_free_vgpr 16
		.amdhsa_next_free_sgpr 22
		.amdhsa_named_barrier_count 0
		.amdhsa_reserve_vcc 1
		.amdhsa_float_round_mode_32 0
		.amdhsa_float_round_mode_16_64 0
		.amdhsa_float_denorm_mode_32 3
		.amdhsa_float_denorm_mode_16_64 3
		.amdhsa_fp16_overflow 0
		.amdhsa_memory_ordered 1
		.amdhsa_forward_progress 1
		.amdhsa_inst_pref_size 4
		.amdhsa_round_robin_scheduling 0
		.amdhsa_exception_fp_ieee_invalid_op 0
		.amdhsa_exception_fp_denorm_src 0
		.amdhsa_exception_fp_ieee_div_zero 0
		.amdhsa_exception_fp_ieee_overflow 0
		.amdhsa_exception_fp_ieee_underflow 0
		.amdhsa_exception_fp_ieee_inexact 0
		.amdhsa_exception_int_div_zero 0
	.end_amdhsa_kernel
	.section	.text._ZL26rocblas_haxpy_mlt_8_kernelILi256EPKDF16_PKPKfPKPfEviT0_lT1_llT2_lli,"axG",@progbits,_ZL26rocblas_haxpy_mlt_8_kernelILi256EPKDF16_PKPKfPKPfEviT0_lT1_llT2_lli,comdat
.Lfunc_end72:
	.size	_ZL26rocblas_haxpy_mlt_8_kernelILi256EPKDF16_PKPKfPKPfEviT0_lT1_llT2_lli, .Lfunc_end72-_ZL26rocblas_haxpy_mlt_8_kernelILi256EPKDF16_PKPKfPKPfEviT0_lT1_llT2_lli
                                        ; -- End function
	.set _ZL26rocblas_haxpy_mlt_8_kernelILi256EPKDF16_PKPKfPKPfEviT0_lT1_llT2_lli.num_vgpr, 16
	.set _ZL26rocblas_haxpy_mlt_8_kernelILi256EPKDF16_PKPKfPKPfEviT0_lT1_llT2_lli.num_agpr, 0
	.set _ZL26rocblas_haxpy_mlt_8_kernelILi256EPKDF16_PKPKfPKPfEviT0_lT1_llT2_lli.numbered_sgpr, 22
	.set _ZL26rocblas_haxpy_mlt_8_kernelILi256EPKDF16_PKPKfPKPfEviT0_lT1_llT2_lli.num_named_barrier, 0
	.set _ZL26rocblas_haxpy_mlt_8_kernelILi256EPKDF16_PKPKfPKPfEviT0_lT1_llT2_lli.private_seg_size, 0
	.set _ZL26rocblas_haxpy_mlt_8_kernelILi256EPKDF16_PKPKfPKPfEviT0_lT1_llT2_lli.uses_vcc, 1
	.set _ZL26rocblas_haxpy_mlt_8_kernelILi256EPKDF16_PKPKfPKPfEviT0_lT1_llT2_lli.uses_flat_scratch, 0
	.set _ZL26rocblas_haxpy_mlt_8_kernelILi256EPKDF16_PKPKfPKPfEviT0_lT1_llT2_lli.has_dyn_sized_stack, 0
	.set _ZL26rocblas_haxpy_mlt_8_kernelILi256EPKDF16_PKPKfPKPfEviT0_lT1_llT2_lli.has_recursion, 0
	.set _ZL26rocblas_haxpy_mlt_8_kernelILi256EPKDF16_PKPKfPKPfEviT0_lT1_llT2_lli.has_indirect_call, 0
	.section	.AMDGPU.csdata,"",@progbits
; Kernel info:
; codeLenInByte = 440
; TotalNumSgprs: 24
; NumVgprs: 16
; ScratchSize: 0
; MemoryBound: 1
; FloatMode: 240
; IeeeMode: 1
; LDSByteSize: 0 bytes/workgroup (compile time only)
; SGPRBlocks: 0
; VGPRBlocks: 0
; NumSGPRsForWavesPerEU: 24
; NumVGPRsForWavesPerEU: 16
; NamedBarCnt: 0
; Occupancy: 16
; WaveLimiterHint : 1
; COMPUTE_PGM_RSRC2:SCRATCH_EN: 0
; COMPUTE_PGM_RSRC2:USER_SGPR: 2
; COMPUTE_PGM_RSRC2:TRAP_HANDLER: 0
; COMPUTE_PGM_RSRC2:TGID_X_EN: 1
; COMPUTE_PGM_RSRC2:TGID_Y_EN: 0
; COMPUTE_PGM_RSRC2:TGID_Z_EN: 1
; COMPUTE_PGM_RSRC2:TIDIG_COMP_CNT: 0
	.section	.text._ZL26rocblas_haxpy_mod_8_kernelILi256EPKfPKS1_PKPfEviT0_lT1_llT2_lli,"axG",@progbits,_ZL26rocblas_haxpy_mod_8_kernelILi256EPKfPKS1_PKPfEviT0_lT1_llT2_lli,comdat
	.globl	_ZL26rocblas_haxpy_mod_8_kernelILi256EPKfPKS1_PKPfEviT0_lT1_llT2_lli ; -- Begin function _ZL26rocblas_haxpy_mod_8_kernelILi256EPKfPKS1_PKPfEviT0_lT1_llT2_lli
	.p2align	8
	.type	_ZL26rocblas_haxpy_mod_8_kernelILi256EPKfPKS1_PKPfEviT0_lT1_llT2_lli,@function
_ZL26rocblas_haxpy_mod_8_kernelILi256EPKfPKS1_PKPfEviT0_lT1_llT2_lli: ; @_ZL26rocblas_haxpy_mod_8_kernelILi256EPKfPKS1_PKPfEviT0_lT1_llT2_lli
; %bb.0:
	s_load_b32 s14, s[0:1], 0x48
	s_bfe_u32 s2, ttmp6, 0x40014
	s_lshr_b32 s3, ttmp7, 16
	s_add_co_i32 s2, s2, 1
	s_bfe_u32 s4, ttmp6, 0x40008
	s_mul_i32 s2, s3, s2
	s_getreg_b32 s15, hwreg(HW_REG_IB_STS2, 6, 4)
	s_add_co_i32 s4, s4, s2
	s_cmp_eq_u32 s15, 0
	s_mov_b32 s13, 0
	s_cselect_b32 s12, s3, s4
	s_wait_kmcnt 0x0
	s_cmp_ge_u32 s12, s14
	s_cbranch_scc1 .LBB73_5
; %bb.1:
	s_clause 0x1
	s_load_b32 s16, s[0:1], 0x0
	s_load_b256 s[4:11], s[0:1], 0x8
	s_bfe_u32 s17, ttmp6, 0x4000c
	s_wait_xcnt 0x0
	s_load_b128 s[0:3], s[0:1], 0x30
	s_add_co_i32 s17, s17, 1
	s_and_b32 s18, ttmp6, 15
	s_mul_i32 s17, ttmp9, s17
	v_mov_b32_e32 v1, 0
	s_add_co_i32 s18, s18, s17
	s_wait_kmcnt 0x0
	s_ashr_i32 s17, s16, 31
	s_cmp_eq_u32 s15, 0
	s_cselect_b32 s15, ttmp9, s18
	s_lshl_b64 s[10:11], s[10:11], 2
	v_lshl_or_b32 v0, s15, 8, v0
	s_lshl_b64 s[2:3], s[2:3], 2
	s_delay_alu instid0(VALU_DEP_1)
	v_lshlrev_b64_e32 v[2:3], 2, v[0:1]
	v_cmp_gt_i64_e32 vcc_lo, s[16:17], v[0:1]
	s_branch .LBB73_3
.LBB73_2:                               ;   in Loop: Header=BB73_3 Depth=1
	s_wait_xcnt 0x0
	s_or_b32 exec_lo, exec_lo, s15
	s_add_co_i32 s12, s12, 0x10000
	s_delay_alu instid0(SALU_CYCLE_1)
	s_cmp_lt_u32 s12, s14
	s_cbranch_scc0 .LBB73_5
.LBB73_3:                               ; =>This Inner Loop Header: Depth=1
	s_mul_u64 s[16:17], s[6:7], s[12:13]
	s_delay_alu instid0(SALU_CYCLE_1) | instskip(NEXT) | instid1(SALU_CYCLE_1)
	s_lshl_b64 s[16:17], s[16:17], 2
	s_add_nc_u64 s[16:17], s[4:5], s[16:17]
	global_load_b32 v0, v1, s[16:17]
	s_wait_loadcnt 0x0
	v_readfirstlane_b32 s15, v0
	s_cmp_neq_f32 s15, 0
	s_cselect_b32 s15, -1, 0
	s_wait_xcnt 0x0
	s_and_b32 s16, vcc_lo, s15
	s_delay_alu instid0(SALU_CYCLE_1)
	s_and_saveexec_b32 s15, s16
	s_cbranch_execz .LBB73_2
; %bb.4:                                ;   in Loop: Header=BB73_3 Depth=1
	s_lshl_b64 s[16:17], s[12:13], 3
	s_delay_alu instid0(SALU_CYCLE_1)
	s_add_nc_u64 s[18:19], s[8:9], s[16:17]
	s_add_nc_u64 s[16:17], s[0:1], s[16:17]
	s_load_b64 s[20:21], s[18:19], 0x0
	s_load_b64 s[22:23], s[16:17], 0x0
	s_wait_kmcnt 0x0
	s_wait_xcnt 0x0
	s_add_nc_u64 s[16:17], s[20:21], s[10:11]
	s_add_nc_u64 s[18:19], s[22:23], s[2:3]
	v_add_nc_u64_e32 v[4:5], s[16:17], v[2:3]
	v_add_nc_u64_e32 v[6:7], s[18:19], v[2:3]
	flat_load_b32 v8, v[4:5]
	flat_load_b32 v9, v[6:7]
	s_wait_loadcnt_dscnt 0x0
	v_fmac_f32_e32 v9, v0, v8
	flat_store_b32 v[6:7], v9
	s_branch .LBB73_2
.LBB73_5:
	s_endpgm
	.section	.rodata,"a",@progbits
	.p2align	6, 0x0
	.amdhsa_kernel _ZL26rocblas_haxpy_mod_8_kernelILi256EPKfPKS1_PKPfEviT0_lT1_llT2_lli
		.amdhsa_group_segment_fixed_size 0
		.amdhsa_private_segment_fixed_size 0
		.amdhsa_kernarg_size 76
		.amdhsa_user_sgpr_count 2
		.amdhsa_user_sgpr_dispatch_ptr 0
		.amdhsa_user_sgpr_queue_ptr 0
		.amdhsa_user_sgpr_kernarg_segment_ptr 1
		.amdhsa_user_sgpr_dispatch_id 0
		.amdhsa_user_sgpr_kernarg_preload_length 0
		.amdhsa_user_sgpr_kernarg_preload_offset 0
		.amdhsa_user_sgpr_private_segment_size 0
		.amdhsa_wavefront_size32 1
		.amdhsa_uses_dynamic_stack 0
		.amdhsa_enable_private_segment 0
		.amdhsa_system_sgpr_workgroup_id_x 1
		.amdhsa_system_sgpr_workgroup_id_y 0
		.amdhsa_system_sgpr_workgroup_id_z 1
		.amdhsa_system_sgpr_workgroup_info 0
		.amdhsa_system_vgpr_workitem_id 0
		.amdhsa_next_free_vgpr 10
		.amdhsa_next_free_sgpr 24
		.amdhsa_named_barrier_count 0
		.amdhsa_reserve_vcc 1
		.amdhsa_float_round_mode_32 0
		.amdhsa_float_round_mode_16_64 0
		.amdhsa_float_denorm_mode_32 3
		.amdhsa_float_denorm_mode_16_64 3
		.amdhsa_fp16_overflow 0
		.amdhsa_memory_ordered 1
		.amdhsa_forward_progress 1
		.amdhsa_inst_pref_size 3
		.amdhsa_round_robin_scheduling 0
		.amdhsa_exception_fp_ieee_invalid_op 0
		.amdhsa_exception_fp_denorm_src 0
		.amdhsa_exception_fp_ieee_div_zero 0
		.amdhsa_exception_fp_ieee_overflow 0
		.amdhsa_exception_fp_ieee_underflow 0
		.amdhsa_exception_fp_ieee_inexact 0
		.amdhsa_exception_int_div_zero 0
	.end_amdhsa_kernel
	.section	.text._ZL26rocblas_haxpy_mod_8_kernelILi256EPKfPKS1_PKPfEviT0_lT1_llT2_lli,"axG",@progbits,_ZL26rocblas_haxpy_mod_8_kernelILi256EPKfPKS1_PKPfEviT0_lT1_llT2_lli,comdat
.Lfunc_end73:
	.size	_ZL26rocblas_haxpy_mod_8_kernelILi256EPKfPKS1_PKPfEviT0_lT1_llT2_lli, .Lfunc_end73-_ZL26rocblas_haxpy_mod_8_kernelILi256EPKfPKS1_PKPfEviT0_lT1_llT2_lli
                                        ; -- End function
	.set _ZL26rocblas_haxpy_mod_8_kernelILi256EPKfPKS1_PKPfEviT0_lT1_llT2_lli.num_vgpr, 10
	.set _ZL26rocblas_haxpy_mod_8_kernelILi256EPKfPKS1_PKPfEviT0_lT1_llT2_lli.num_agpr, 0
	.set _ZL26rocblas_haxpy_mod_8_kernelILi256EPKfPKS1_PKPfEviT0_lT1_llT2_lli.numbered_sgpr, 24
	.set _ZL26rocblas_haxpy_mod_8_kernelILi256EPKfPKS1_PKPfEviT0_lT1_llT2_lli.num_named_barrier, 0
	.set _ZL26rocblas_haxpy_mod_8_kernelILi256EPKfPKS1_PKPfEviT0_lT1_llT2_lli.private_seg_size, 0
	.set _ZL26rocblas_haxpy_mod_8_kernelILi256EPKfPKS1_PKPfEviT0_lT1_llT2_lli.uses_vcc, 1
	.set _ZL26rocblas_haxpy_mod_8_kernelILi256EPKfPKS1_PKPfEviT0_lT1_llT2_lli.uses_flat_scratch, 0
	.set _ZL26rocblas_haxpy_mod_8_kernelILi256EPKfPKS1_PKPfEviT0_lT1_llT2_lli.has_dyn_sized_stack, 0
	.set _ZL26rocblas_haxpy_mod_8_kernelILi256EPKfPKS1_PKPfEviT0_lT1_llT2_lli.has_recursion, 0
	.set _ZL26rocblas_haxpy_mod_8_kernelILi256EPKfPKS1_PKPfEviT0_lT1_llT2_lli.has_indirect_call, 0
	.section	.AMDGPU.csdata,"",@progbits
; Kernel info:
; codeLenInByte = 376
; TotalNumSgprs: 26
; NumVgprs: 10
; ScratchSize: 0
; MemoryBound: 0
; FloatMode: 240
; IeeeMode: 1
; LDSByteSize: 0 bytes/workgroup (compile time only)
; SGPRBlocks: 0
; VGPRBlocks: 0
; NumSGPRsForWavesPerEU: 26
; NumVGPRsForWavesPerEU: 10
; NamedBarCnt: 0
; Occupancy: 16
; WaveLimiterHint : 1
; COMPUTE_PGM_RSRC2:SCRATCH_EN: 0
; COMPUTE_PGM_RSRC2:USER_SGPR: 2
; COMPUTE_PGM_RSRC2:TRAP_HANDLER: 0
; COMPUTE_PGM_RSRC2:TGID_X_EN: 1
; COMPUTE_PGM_RSRC2:TGID_Y_EN: 0
; COMPUTE_PGM_RSRC2:TGID_Z_EN: 1
; COMPUTE_PGM_RSRC2:TIDIG_COMP_CNT: 0
	.section	.text._ZL26rocblas_haxpy_mlt_8_kernelILi256EDF16_PKPKfPKPfEviT0_lT1_llT2_lli,"axG",@progbits,_ZL26rocblas_haxpy_mlt_8_kernelILi256EDF16_PKPKfPKPfEviT0_lT1_llT2_lli,comdat
	.globl	_ZL26rocblas_haxpy_mlt_8_kernelILi256EDF16_PKPKfPKPfEviT0_lT1_llT2_lli ; -- Begin function _ZL26rocblas_haxpy_mlt_8_kernelILi256EDF16_PKPKfPKPfEviT0_lT1_llT2_lli
	.p2align	8
	.type	_ZL26rocblas_haxpy_mlt_8_kernelILi256EDF16_PKPKfPKPfEviT0_lT1_llT2_lli,@function
_ZL26rocblas_haxpy_mlt_8_kernelILi256EDF16_PKPKfPKPfEviT0_lT1_llT2_lli: ; @_ZL26rocblas_haxpy_mlt_8_kernelILi256EDF16_PKPKfPKPfEviT0_lT1_llT2_lli
; %bb.0:
	s_load_b32 s12, s[0:1], 0x40
	s_bfe_u32 s2, ttmp6, 0x40014
	s_lshr_b32 s3, ttmp7, 16
	s_add_co_i32 s2, s2, 1
	s_bfe_u32 s5, ttmp6, 0x40008
	s_mul_i32 s4, s3, s2
	s_getreg_b32 s2, hwreg(HW_REG_IB_STS2, 6, 4)
	s_add_co_i32 s5, s5, s4
	s_cmp_eq_u32 s2, 0
	s_cselect_b32 s13, s3, s5
	s_wait_kmcnt 0x0
	s_cmp_ge_u32 s13, s12
	s_cbranch_scc1 .LBB74_5
; %bb.1:
	s_load_b64 s[16:17], s[0:1], 0x0
	s_bfe_u32 s3, ttmp6, 0x4000c
	s_and_b32 s4, ttmp6, 15
	s_add_co_i32 s3, s3, 1
	s_load_b128 s[8:11], s[0:1], 0x28
	s_mul_i32 s3, ttmp9, s3
	v_mov_b32_e32 v1, 0
	s_add_co_i32 s3, s4, s3
	s_cmp_eq_u32 s2, 0
	s_load_b128 s[4:7], s[0:1], 0x10
	s_cselect_b32 s2, ttmp9, s3
	s_delay_alu instid0(SALU_CYCLE_1) | instskip(NEXT) | instid1(VALU_DEP_1)
	v_lshl_or_b32 v0, s2, 8, v0
	v_lshlrev_b64_e32 v[0:1], 3, v[0:1]
	s_wait_kmcnt 0x0
	s_pack_ll_b32_b16 s14, s17, s17
	s_delay_alu instid0(SALU_CYCLE_1) | instskip(SKIP_4) | instid1(SALU_CYCLE_1)
	s_and_b32 s0, s14, 0x7fff
	s_mov_b32 s15, s14
	s_cmp_lg_u32 s0, 0
	s_cselect_b32 s2, -1, 0
	s_ashr_i32 s17, s16, 31
	v_cmp_gt_i64_e32 vcc_lo, s[16:17], v[0:1]
	v_lshlrev_b64_e32 v[0:1], 2, v[0:1]
	s_mov_b32 s16, s14
	s_mov_b32 s17, s14
	s_lshl_b64 s[0:1], s[6:7], 2
	s_and_b32 s6, s2, vcc_lo
	s_lshl_b64 s[2:3], s[10:11], 2
	s_branch .LBB74_3
.LBB74_2:                               ;   in Loop: Header=BB74_3 Depth=1
	s_wait_xcnt 0x0
	s_or_b32 exec_lo, exec_lo, s7
	s_add_co_i32 s13, s13, 0x10000
	s_delay_alu instid0(SALU_CYCLE_1)
	s_cmp_lt_u32 s13, s12
	s_cbranch_scc0 .LBB74_5
.LBB74_3:                               ; =>This Inner Loop Header: Depth=1
	s_and_saveexec_b32 s7, s6
	s_cbranch_execz .LBB74_2
; %bb.4:                                ;   in Loop: Header=BB74_3 Depth=1
	v_mov_b32_e32 v6, s13
	s_clause 0x1
	global_load_b64 v[2:3], v6, s[8:9] scale_offset
	global_load_b64 v[4:5], v6, s[4:5] scale_offset
	s_wait_loadcnt 0x1
	v_add_nc_u64_e32 v[2:3], s[2:3], v[2:3]
	s_wait_loadcnt 0x0
	v_add_nc_u64_e32 v[4:5], s[0:1], v[4:5]
	s_delay_alu instid0(VALU_DEP_2) | instskip(NEXT) | instid1(VALU_DEP_2)
	v_add_nc_u64_e32 v[10:11], v[2:3], v[0:1]
	v_add_nc_u64_e32 v[12:13], v[4:5], v[0:1]
	flat_load_b128 v[2:5], v[10:11]
	flat_load_b128 v[6:9], v[12:13]
	s_wait_loadcnt_dscnt 0x0
	v_pk_fma_f16 v5, s17, v9, v5
	v_pk_fma_f16 v4, s16, v8, v4
	;; [unrolled: 1-line block ×4, first 2 shown]
	flat_store_b128 v[10:11], v[2:5]
	s_branch .LBB74_2
.LBB74_5:
	s_endpgm
	.section	.rodata,"a",@progbits
	.p2align	6, 0x0
	.amdhsa_kernel _ZL26rocblas_haxpy_mlt_8_kernelILi256EDF16_PKPKfPKPfEviT0_lT1_llT2_lli
		.amdhsa_group_segment_fixed_size 0
		.amdhsa_private_segment_fixed_size 0
		.amdhsa_kernarg_size 68
		.amdhsa_user_sgpr_count 2
		.amdhsa_user_sgpr_dispatch_ptr 0
		.amdhsa_user_sgpr_queue_ptr 0
		.amdhsa_user_sgpr_kernarg_segment_ptr 1
		.amdhsa_user_sgpr_dispatch_id 0
		.amdhsa_user_sgpr_kernarg_preload_length 0
		.amdhsa_user_sgpr_kernarg_preload_offset 0
		.amdhsa_user_sgpr_private_segment_size 0
		.amdhsa_wavefront_size32 1
		.amdhsa_uses_dynamic_stack 0
		.amdhsa_enable_private_segment 0
		.amdhsa_system_sgpr_workgroup_id_x 1
		.amdhsa_system_sgpr_workgroup_id_y 0
		.amdhsa_system_sgpr_workgroup_id_z 1
		.amdhsa_system_sgpr_workgroup_info 0
		.amdhsa_system_vgpr_workitem_id 0
		.amdhsa_next_free_vgpr 14
		.amdhsa_next_free_sgpr 18
		.amdhsa_named_barrier_count 0
		.amdhsa_reserve_vcc 1
		.amdhsa_float_round_mode_32 0
		.amdhsa_float_round_mode_16_64 0
		.amdhsa_float_denorm_mode_32 3
		.amdhsa_float_denorm_mode_16_64 3
		.amdhsa_fp16_overflow 0
		.amdhsa_memory_ordered 1
		.amdhsa_forward_progress 1
		.amdhsa_inst_pref_size 3
		.amdhsa_round_robin_scheduling 0
		.amdhsa_exception_fp_ieee_invalid_op 0
		.amdhsa_exception_fp_denorm_src 0
		.amdhsa_exception_fp_ieee_div_zero 0
		.amdhsa_exception_fp_ieee_overflow 0
		.amdhsa_exception_fp_ieee_underflow 0
		.amdhsa_exception_fp_ieee_inexact 0
		.amdhsa_exception_int_div_zero 0
	.end_amdhsa_kernel
	.section	.text._ZL26rocblas_haxpy_mlt_8_kernelILi256EDF16_PKPKfPKPfEviT0_lT1_llT2_lli,"axG",@progbits,_ZL26rocblas_haxpy_mlt_8_kernelILi256EDF16_PKPKfPKPfEviT0_lT1_llT2_lli,comdat
.Lfunc_end74:
	.size	_ZL26rocblas_haxpy_mlt_8_kernelILi256EDF16_PKPKfPKPfEviT0_lT1_llT2_lli, .Lfunc_end74-_ZL26rocblas_haxpy_mlt_8_kernelILi256EDF16_PKPKfPKPfEviT0_lT1_llT2_lli
                                        ; -- End function
	.set _ZL26rocblas_haxpy_mlt_8_kernelILi256EDF16_PKPKfPKPfEviT0_lT1_llT2_lli.num_vgpr, 14
	.set _ZL26rocblas_haxpy_mlt_8_kernelILi256EDF16_PKPKfPKPfEviT0_lT1_llT2_lli.num_agpr, 0
	.set _ZL26rocblas_haxpy_mlt_8_kernelILi256EDF16_PKPKfPKPfEviT0_lT1_llT2_lli.numbered_sgpr, 18
	.set _ZL26rocblas_haxpy_mlt_8_kernelILi256EDF16_PKPKfPKPfEviT0_lT1_llT2_lli.num_named_barrier, 0
	.set _ZL26rocblas_haxpy_mlt_8_kernelILi256EDF16_PKPKfPKPfEviT0_lT1_llT2_lli.private_seg_size, 0
	.set _ZL26rocblas_haxpy_mlt_8_kernelILi256EDF16_PKPKfPKPfEviT0_lT1_llT2_lli.uses_vcc, 1
	.set _ZL26rocblas_haxpy_mlt_8_kernelILi256EDF16_PKPKfPKPfEviT0_lT1_llT2_lli.uses_flat_scratch, 0
	.set _ZL26rocblas_haxpy_mlt_8_kernelILi256EDF16_PKPKfPKPfEviT0_lT1_llT2_lli.has_dyn_sized_stack, 0
	.set _ZL26rocblas_haxpy_mlt_8_kernelILi256EDF16_PKPKfPKPfEviT0_lT1_llT2_lli.has_recursion, 0
	.set _ZL26rocblas_haxpy_mlt_8_kernelILi256EDF16_PKPKfPKPfEviT0_lT1_llT2_lli.has_indirect_call, 0
	.section	.AMDGPU.csdata,"",@progbits
; Kernel info:
; codeLenInByte = 384
; TotalNumSgprs: 20
; NumVgprs: 14
; ScratchSize: 0
; MemoryBound: 1
; FloatMode: 240
; IeeeMode: 1
; LDSByteSize: 0 bytes/workgroup (compile time only)
; SGPRBlocks: 0
; VGPRBlocks: 0
; NumSGPRsForWavesPerEU: 20
; NumVGPRsForWavesPerEU: 14
; NamedBarCnt: 0
; Occupancy: 16
; WaveLimiterHint : 1
; COMPUTE_PGM_RSRC2:SCRATCH_EN: 0
; COMPUTE_PGM_RSRC2:USER_SGPR: 2
; COMPUTE_PGM_RSRC2:TRAP_HANDLER: 0
; COMPUTE_PGM_RSRC2:TGID_X_EN: 1
; COMPUTE_PGM_RSRC2:TGID_Y_EN: 0
; COMPUTE_PGM_RSRC2:TGID_Z_EN: 1
; COMPUTE_PGM_RSRC2:TIDIG_COMP_CNT: 0
	.section	.text._ZL26rocblas_haxpy_mod_8_kernelILi256EfPKPKfPKPfEviT0_lT1_llT2_lli,"axG",@progbits,_ZL26rocblas_haxpy_mod_8_kernelILi256EfPKPKfPKPfEviT0_lT1_llT2_lli,comdat
	.globl	_ZL26rocblas_haxpy_mod_8_kernelILi256EfPKPKfPKPfEviT0_lT1_llT2_lli ; -- Begin function _ZL26rocblas_haxpy_mod_8_kernelILi256EfPKPKfPKPfEviT0_lT1_llT2_lli
	.p2align	8
	.type	_ZL26rocblas_haxpy_mod_8_kernelILi256EfPKPKfPKPfEviT0_lT1_llT2_lli,@function
_ZL26rocblas_haxpy_mod_8_kernelILi256EfPKPKfPKPfEviT0_lT1_llT2_lli: ; @_ZL26rocblas_haxpy_mod_8_kernelILi256EfPKPKfPKPfEviT0_lT1_llT2_lli
; %bb.0:
	s_load_b32 s12, s[0:1], 0x40
	s_bfe_u32 s2, ttmp6, 0x40014
	s_lshr_b32 s3, ttmp7, 16
	s_add_co_i32 s2, s2, 1
	s_bfe_u32 s4, ttmp6, 0x40008
	s_mul_i32 s2, s3, s2
	s_getreg_b32 s14, hwreg(HW_REG_IB_STS2, 6, 4)
	s_add_co_i32 s4, s4, s2
	s_cmp_eq_u32 s14, 0
	s_cselect_b32 s13, s3, s4
	s_wait_kmcnt 0x0
	s_cmp_ge_u32 s13, s12
	s_cbranch_scc1 .LBB75_5
; %bb.1:
	s_clause 0x1
	s_load_b64 s[2:3], s[0:1], 0x0
	s_load_b128 s[4:7], s[0:1], 0x10
	s_bfe_u32 s8, ttmp6, 0x4000c
	s_and_b32 s15, ttmp6, 15
	s_add_co_i32 s8, s8, 1
	v_mov_b32_e32 v1, 0
	s_mul_i32 s16, ttmp9, s8
	s_load_b128 s[8:11], s[0:1], 0x28
	s_add_co_i32 s15, s15, s16
	s_cmp_eq_u32 s14, 0
	s_wait_xcnt 0x0
	s_cselect_b32 s0, ttmp9, s15
	s_delay_alu instid0(SALU_CYCLE_1)
	v_lshl_or_b32 v0, s0, 8, v0
	s_wait_kmcnt 0x0
	s_cmp_neq_f32 s3, 0
	s_mov_b32 s0, s2
	s_cselect_b32 s14, -1, 0
	s_ashr_i32 s1, s2, 31
	s_delay_alu instid0(SALU_CYCLE_1)
	v_cmp_gt_i64_e32 vcc_lo, s[0:1], v[0:1]
	v_lshlrev_b64_e32 v[0:1], 2, v[0:1]
	s_lshl_b64 s[0:1], s[6:7], 2
	s_lshl_b64 s[6:7], s[10:11], 2
	s_and_b32 s2, s14, vcc_lo
	s_branch .LBB75_3
.LBB75_2:                               ;   in Loop: Header=BB75_3 Depth=1
	s_wait_xcnt 0x0
	s_or_b32 exec_lo, exec_lo, s10
	s_add_co_i32 s13, s13, 0x10000
	s_delay_alu instid0(SALU_CYCLE_1)
	s_cmp_lt_u32 s13, s12
	s_cbranch_scc0 .LBB75_5
.LBB75_3:                               ; =>This Inner Loop Header: Depth=1
	s_and_saveexec_b32 s10, s2
	s_cbranch_execz .LBB75_2
; %bb.4:                                ;   in Loop: Header=BB75_3 Depth=1
	s_load_b64 s[14:15], s[4:5], s13 offset:0x0 scale_offset
	s_load_b64 s[16:17], s[8:9], s13 offset:0x0 scale_offset
	s_wait_kmcnt 0x0
	s_add_nc_u64 s[14:15], s[14:15], s[0:1]
	s_add_nc_u64 s[16:17], s[16:17], s[6:7]
	v_add_nc_u64_e32 v[2:3], s[14:15], v[0:1]
	v_add_nc_u64_e32 v[4:5], s[16:17], v[0:1]
	flat_load_b32 v6, v[2:3]
	flat_load_b32 v7, v[4:5]
	s_wait_loadcnt_dscnt 0x0
	v_fmac_f32_e32 v7, s3, v6
	flat_store_b32 v[4:5], v7
	s_branch .LBB75_2
.LBB75_5:
	s_endpgm
	.section	.rodata,"a",@progbits
	.p2align	6, 0x0
	.amdhsa_kernel _ZL26rocblas_haxpy_mod_8_kernelILi256EfPKPKfPKPfEviT0_lT1_llT2_lli
		.amdhsa_group_segment_fixed_size 0
		.amdhsa_private_segment_fixed_size 0
		.amdhsa_kernarg_size 68
		.amdhsa_user_sgpr_count 2
		.amdhsa_user_sgpr_dispatch_ptr 0
		.amdhsa_user_sgpr_queue_ptr 0
		.amdhsa_user_sgpr_kernarg_segment_ptr 1
		.amdhsa_user_sgpr_dispatch_id 0
		.amdhsa_user_sgpr_kernarg_preload_length 0
		.amdhsa_user_sgpr_kernarg_preload_offset 0
		.amdhsa_user_sgpr_private_segment_size 0
		.amdhsa_wavefront_size32 1
		.amdhsa_uses_dynamic_stack 0
		.amdhsa_enable_private_segment 0
		.amdhsa_system_sgpr_workgroup_id_x 1
		.amdhsa_system_sgpr_workgroup_id_y 0
		.amdhsa_system_sgpr_workgroup_id_z 1
		.amdhsa_system_sgpr_workgroup_info 0
		.amdhsa_system_vgpr_workitem_id 0
		.amdhsa_next_free_vgpr 8
		.amdhsa_next_free_sgpr 18
		.amdhsa_named_barrier_count 0
		.amdhsa_reserve_vcc 1
		.amdhsa_float_round_mode_32 0
		.amdhsa_float_round_mode_16_64 0
		.amdhsa_float_denorm_mode_32 3
		.amdhsa_float_denorm_mode_16_64 3
		.amdhsa_fp16_overflow 0
		.amdhsa_memory_ordered 1
		.amdhsa_forward_progress 1
		.amdhsa_inst_pref_size 3
		.amdhsa_round_robin_scheduling 0
		.amdhsa_exception_fp_ieee_invalid_op 0
		.amdhsa_exception_fp_denorm_src 0
		.amdhsa_exception_fp_ieee_div_zero 0
		.amdhsa_exception_fp_ieee_overflow 0
		.amdhsa_exception_fp_ieee_underflow 0
		.amdhsa_exception_fp_ieee_inexact 0
		.amdhsa_exception_int_div_zero 0
	.end_amdhsa_kernel
	.section	.text._ZL26rocblas_haxpy_mod_8_kernelILi256EfPKPKfPKPfEviT0_lT1_llT2_lli,"axG",@progbits,_ZL26rocblas_haxpy_mod_8_kernelILi256EfPKPKfPKPfEviT0_lT1_llT2_lli,comdat
.Lfunc_end75:
	.size	_ZL26rocblas_haxpy_mod_8_kernelILi256EfPKPKfPKPfEviT0_lT1_llT2_lli, .Lfunc_end75-_ZL26rocblas_haxpy_mod_8_kernelILi256EfPKPKfPKPfEviT0_lT1_llT2_lli
                                        ; -- End function
	.set _ZL26rocblas_haxpy_mod_8_kernelILi256EfPKPKfPKPfEviT0_lT1_llT2_lli.num_vgpr, 8
	.set _ZL26rocblas_haxpy_mod_8_kernelILi256EfPKPKfPKPfEviT0_lT1_llT2_lli.num_agpr, 0
	.set _ZL26rocblas_haxpy_mod_8_kernelILi256EfPKPKfPKPfEviT0_lT1_llT2_lli.numbered_sgpr, 18
	.set _ZL26rocblas_haxpy_mod_8_kernelILi256EfPKPKfPKPfEviT0_lT1_llT2_lli.num_named_barrier, 0
	.set _ZL26rocblas_haxpy_mod_8_kernelILi256EfPKPKfPKPfEviT0_lT1_llT2_lli.private_seg_size, 0
	.set _ZL26rocblas_haxpy_mod_8_kernelILi256EfPKPKfPKPfEviT0_lT1_llT2_lli.uses_vcc, 1
	.set _ZL26rocblas_haxpy_mod_8_kernelILi256EfPKPKfPKPfEviT0_lT1_llT2_lli.uses_flat_scratch, 0
	.set _ZL26rocblas_haxpy_mod_8_kernelILi256EfPKPKfPKPfEviT0_lT1_llT2_lli.has_dyn_sized_stack, 0
	.set _ZL26rocblas_haxpy_mod_8_kernelILi256EfPKPKfPKPfEviT0_lT1_llT2_lli.has_recursion, 0
	.set _ZL26rocblas_haxpy_mod_8_kernelILi256EfPKPKfPKPfEviT0_lT1_llT2_lli.has_indirect_call, 0
	.section	.AMDGPU.csdata,"",@progbits
; Kernel info:
; codeLenInByte = 316
; TotalNumSgprs: 20
; NumVgprs: 8
; ScratchSize: 0
; MemoryBound: 0
; FloatMode: 240
; IeeeMode: 1
; LDSByteSize: 0 bytes/workgroup (compile time only)
; SGPRBlocks: 0
; VGPRBlocks: 0
; NumSGPRsForWavesPerEU: 20
; NumVGPRsForWavesPerEU: 8
; NamedBarCnt: 0
; Occupancy: 16
; WaveLimiterHint : 1
; COMPUTE_PGM_RSRC2:SCRATCH_EN: 0
; COMPUTE_PGM_RSRC2:USER_SGPR: 2
; COMPUTE_PGM_RSRC2:TRAP_HANDLER: 0
; COMPUTE_PGM_RSRC2:TGID_X_EN: 1
; COMPUTE_PGM_RSRC2:TGID_Y_EN: 0
; COMPUTE_PGM_RSRC2:TGID_Z_EN: 1
; COMPUTE_PGM_RSRC2:TIDIG_COMP_CNT: 0
	.section	.text._ZL22rocblas_saxpy_2_kernelILi256EfPKfPKS1_PKPfEviT1_lT2_llT3_lli,"axG",@progbits,_ZL22rocblas_saxpy_2_kernelILi256EfPKfPKS1_PKPfEviT1_lT2_llT3_lli,comdat
	.globl	_ZL22rocblas_saxpy_2_kernelILi256EfPKfPKS1_PKPfEviT1_lT2_llT3_lli ; -- Begin function _ZL22rocblas_saxpy_2_kernelILi256EfPKfPKS1_PKPfEviT1_lT2_llT3_lli
	.p2align	8
	.type	_ZL22rocblas_saxpy_2_kernelILi256EfPKfPKS1_PKPfEviT1_lT2_llT3_lli,@function
_ZL22rocblas_saxpy_2_kernelILi256EfPKfPKS1_PKPfEviT1_lT2_llT3_lli: ; @_ZL22rocblas_saxpy_2_kernelILi256EfPKfPKS1_PKPfEviT1_lT2_llT3_lli
; %bb.0:
	s_load_b32 s16, s[0:1], 0x48
	s_bfe_u32 s2, ttmp6, 0x40014
	s_lshr_b32 s3, ttmp7, 16
	s_add_co_i32 s2, s2, 1
	s_bfe_u32 s4, ttmp6, 0x40008
	s_mul_i32 s2, s3, s2
	s_getreg_b32 s17, hwreg(HW_REG_IB_STS2, 6, 4)
	s_add_co_i32 s4, s4, s2
	s_cmp_eq_u32 s17, 0
	s_cselect_b32 s2, s3, s4
	s_mov_b32 s3, 0
	s_wait_kmcnt 0x0
	s_cmp_ge_u32 s2, s16
	s_cbranch_scc1 .LBB76_9
; %bb.1:
	s_clause 0x1
	s_load_b32 s18, s[0:1], 0x0
	s_load_b256 s[4:11], s[0:1], 0x8
	s_bfe_u32 s19, ttmp6, 0x4000c
	s_load_b128 s[12:15], s[0:1], 0x30
	s_add_co_i32 s19, s19, 1
	s_wait_xcnt 0x0
	s_and_b32 s0, ttmp6, 15
	s_mul_i32 s1, ttmp9, s19
	v_dual_mov_b32 v1, 0 :: v_dual_lshlrev_b32 v0, 1, v0
	s_add_co_i32 s0, s0, s1
	s_cmp_eq_u32 s17, 0
	s_cselect_b32 s0, ttmp9, s0
	s_delay_alu instid0(VALU_DEP_1) | instid1(SALU_CYCLE_1)
	v_lshl_or_b32 v0, s0, 9, v0
	s_delay_alu instid0(VALU_DEP_1) | instskip(SKIP_2) | instid1(SALU_CYCLE_1)
	v_lshlrev_b64_e32 v[2:3], 2, v[0:1]
	s_wait_kmcnt 0x0
	s_add_co_i32 s0, s18, -1
	s_ashr_i32 s1, s0, 31
	s_bitcmp1_b32 s18, 0
	v_cmp_eq_u64_e32 vcc_lo, s[0:1], v[0:1]
	v_cmp_gt_i64_e64 s0, s[0:1], v[0:1]
	s_cselect_b32 s1, -1, 0
	s_lshl_b64 s[10:11], s[10:11], 2
	s_lshl_b64 s[14:15], s[14:15], 2
	s_and_b32 s1, s1, vcc_lo
	s_branch .LBB76_4
.LBB76_2:                               ;   in Loop: Header=BB76_4 Depth=1
	s_wait_xcnt 0x0
	s_or_b32 exec_lo, exec_lo, s17
.LBB76_3:                               ;   in Loop: Header=BB76_4 Depth=1
	s_add_co_i32 s2, s2, 0x10000
	s_delay_alu instid0(SALU_CYCLE_1)
	s_cmp_lt_u32 s2, s16
	s_cbranch_scc0 .LBB76_9
.LBB76_4:                               ; =>This Inner Loop Header: Depth=1
	s_wait_xcnt 0x0
	s_mul_u64 s[18:19], s[6:7], s[2:3]
	s_delay_alu instid0(SALU_CYCLE_1) | instskip(NEXT) | instid1(SALU_CYCLE_1)
	s_lshl_b64 s[18:19], s[18:19], 2
	s_add_nc_u64 s[18:19], s[4:5], s[18:19]
	global_load_b32 v0, v1, s[18:19]
	s_wait_loadcnt 0x0
	v_cmp_eq_f32_e32 vcc_lo, 0, v0
	s_cbranch_vccnz .LBB76_3
; %bb.5:                                ;   in Loop: Header=BB76_4 Depth=1
	s_wait_xcnt 0x0
	s_lshl_b64 s[18:19], s[2:3], 3
	s_delay_alu instid0(SALU_CYCLE_1)
	s_add_nc_u64 s[20:21], s[12:13], s[18:19]
	s_add_nc_u64 s[18:19], s[8:9], s[18:19]
	s_load_b64 s[22:23], s[20:21], 0x0
	s_load_b64 s[24:25], s[18:19], 0x0
	s_wait_kmcnt 0x0
	s_wait_xcnt 0x0
	s_add_nc_u64 s[18:19], s[22:23], s[14:15]
	s_add_nc_u64 s[20:21], s[24:25], s[10:11]
	v_add_nc_u64_e32 v[4:5], s[18:19], v[2:3]
	v_add_nc_u64_e32 v[6:7], s[20:21], v[2:3]
	s_and_saveexec_b32 s17, s0
	s_cbranch_execz .LBB76_7
; %bb.6:                                ;   in Loop: Header=BB76_4 Depth=1
	flat_load_b64 v[8:9], v[4:5]
	flat_load_b32 v10, v[6:7]
	s_wait_loadcnt_dscnt 0x0
	v_fma_f32 v8, v0, v10, v8
	flat_store_b32 v[4:5], v8
	flat_load_b32 v8, v[6:7] offset:4
	s_wait_loadcnt_dscnt 0x0
	v_fmac_f32_e32 v9, v0, v8
	flat_store_b32 v[4:5], v9 offset:4
.LBB76_7:                               ;   in Loop: Header=BB76_4 Depth=1
	s_wait_xcnt 0x0
	s_or_b32 exec_lo, exec_lo, s17
	s_and_saveexec_b32 s17, s1
	s_cbranch_execz .LBB76_2
; %bb.8:                                ;   in Loop: Header=BB76_4 Depth=1
	flat_load_b32 v8, v[4:5]
	flat_load_b32 v9, v[6:7]
	s_wait_loadcnt_dscnt 0x0
	v_fmac_f32_e32 v8, v0, v9
	flat_store_b32 v[4:5], v8
	s_branch .LBB76_2
.LBB76_9:
	s_endpgm
	.section	.rodata,"a",@progbits
	.p2align	6, 0x0
	.amdhsa_kernel _ZL22rocblas_saxpy_2_kernelILi256EfPKfPKS1_PKPfEviT1_lT2_llT3_lli
		.amdhsa_group_segment_fixed_size 0
		.amdhsa_private_segment_fixed_size 0
		.amdhsa_kernarg_size 76
		.amdhsa_user_sgpr_count 2
		.amdhsa_user_sgpr_dispatch_ptr 0
		.amdhsa_user_sgpr_queue_ptr 0
		.amdhsa_user_sgpr_kernarg_segment_ptr 1
		.amdhsa_user_sgpr_dispatch_id 0
		.amdhsa_user_sgpr_kernarg_preload_length 0
		.amdhsa_user_sgpr_kernarg_preload_offset 0
		.amdhsa_user_sgpr_private_segment_size 0
		.amdhsa_wavefront_size32 1
		.amdhsa_uses_dynamic_stack 0
		.amdhsa_enable_private_segment 0
		.amdhsa_system_sgpr_workgroup_id_x 1
		.amdhsa_system_sgpr_workgroup_id_y 0
		.amdhsa_system_sgpr_workgroup_id_z 1
		.amdhsa_system_sgpr_workgroup_info 0
		.amdhsa_system_vgpr_workitem_id 0
		.amdhsa_next_free_vgpr 11
		.amdhsa_next_free_sgpr 26
		.amdhsa_named_barrier_count 0
		.amdhsa_reserve_vcc 1
		.amdhsa_float_round_mode_32 0
		.amdhsa_float_round_mode_16_64 0
		.amdhsa_float_denorm_mode_32 3
		.amdhsa_float_denorm_mode_16_64 3
		.amdhsa_fp16_overflow 0
		.amdhsa_memory_ordered 1
		.amdhsa_forward_progress 1
		.amdhsa_inst_pref_size 4
		.amdhsa_round_robin_scheduling 0
		.amdhsa_exception_fp_ieee_invalid_op 0
		.amdhsa_exception_fp_denorm_src 0
		.amdhsa_exception_fp_ieee_div_zero 0
		.amdhsa_exception_fp_ieee_overflow 0
		.amdhsa_exception_fp_ieee_underflow 0
		.amdhsa_exception_fp_ieee_inexact 0
		.amdhsa_exception_int_div_zero 0
	.end_amdhsa_kernel
	.section	.text._ZL22rocblas_saxpy_2_kernelILi256EfPKfPKS1_PKPfEviT1_lT2_llT3_lli,"axG",@progbits,_ZL22rocblas_saxpy_2_kernelILi256EfPKfPKS1_PKPfEviT1_lT2_llT3_lli,comdat
.Lfunc_end76:
	.size	_ZL22rocblas_saxpy_2_kernelILi256EfPKfPKS1_PKPfEviT1_lT2_llT3_lli, .Lfunc_end76-_ZL22rocblas_saxpy_2_kernelILi256EfPKfPKS1_PKPfEviT1_lT2_llT3_lli
                                        ; -- End function
	.set _ZL22rocblas_saxpy_2_kernelILi256EfPKfPKS1_PKPfEviT1_lT2_llT3_lli.num_vgpr, 11
	.set _ZL22rocblas_saxpy_2_kernelILi256EfPKfPKS1_PKPfEviT1_lT2_llT3_lli.num_agpr, 0
	.set _ZL22rocblas_saxpy_2_kernelILi256EfPKfPKS1_PKPfEviT1_lT2_llT3_lli.numbered_sgpr, 26
	.set _ZL22rocblas_saxpy_2_kernelILi256EfPKfPKS1_PKPfEviT1_lT2_llT3_lli.num_named_barrier, 0
	.set _ZL22rocblas_saxpy_2_kernelILi256EfPKfPKS1_PKPfEviT1_lT2_llT3_lli.private_seg_size, 0
	.set _ZL22rocblas_saxpy_2_kernelILi256EfPKfPKS1_PKPfEviT1_lT2_llT3_lli.uses_vcc, 1
	.set _ZL22rocblas_saxpy_2_kernelILi256EfPKfPKS1_PKPfEviT1_lT2_llT3_lli.uses_flat_scratch, 0
	.set _ZL22rocblas_saxpy_2_kernelILi256EfPKfPKS1_PKPfEviT1_lT2_llT3_lli.has_dyn_sized_stack, 0
	.set _ZL22rocblas_saxpy_2_kernelILi256EfPKfPKS1_PKPfEviT1_lT2_llT3_lli.has_recursion, 0
	.set _ZL22rocblas_saxpy_2_kernelILi256EfPKfPKS1_PKPfEviT1_lT2_llT3_lli.has_indirect_call, 0
	.section	.AMDGPU.csdata,"",@progbits
; Kernel info:
; codeLenInByte = 496
; TotalNumSgprs: 28
; NumVgprs: 11
; ScratchSize: 0
; MemoryBound: 0
; FloatMode: 240
; IeeeMode: 1
; LDSByteSize: 0 bytes/workgroup (compile time only)
; SGPRBlocks: 0
; VGPRBlocks: 0
; NumSGPRsForWavesPerEU: 28
; NumVGPRsForWavesPerEU: 11
; NamedBarCnt: 0
; Occupancy: 16
; WaveLimiterHint : 1
; COMPUTE_PGM_RSRC2:SCRATCH_EN: 0
; COMPUTE_PGM_RSRC2:USER_SGPR: 2
; COMPUTE_PGM_RSRC2:TRAP_HANDLER: 0
; COMPUTE_PGM_RSRC2:TGID_X_EN: 1
; COMPUTE_PGM_RSRC2:TGID_Y_EN: 0
; COMPUTE_PGM_RSRC2:TGID_Z_EN: 1
; COMPUTE_PGM_RSRC2:TIDIG_COMP_CNT: 0
	.section	.text._ZL22rocblas_saxpy_2_kernelILi256EffPKPKfPKPfEviT1_lT2_llT3_lli,"axG",@progbits,_ZL22rocblas_saxpy_2_kernelILi256EffPKPKfPKPfEviT1_lT2_llT3_lli,comdat
	.globl	_ZL22rocblas_saxpy_2_kernelILi256EffPKPKfPKPfEviT1_lT2_llT3_lli ; -- Begin function _ZL22rocblas_saxpy_2_kernelILi256EffPKPKfPKPfEviT1_lT2_llT3_lli
	.p2align	8
	.type	_ZL22rocblas_saxpy_2_kernelILi256EffPKPKfPKPfEviT1_lT2_llT3_lli,@function
_ZL22rocblas_saxpy_2_kernelILi256EffPKPKfPKPfEviT1_lT2_llT3_lli: ; @_ZL22rocblas_saxpy_2_kernelILi256EffPKPKfPKPfEviT1_lT2_llT3_lli
; %bb.0:
	s_load_b32 s12, s[0:1], 0x40
	s_bfe_u32 s2, ttmp6, 0x40014
	s_lshr_b32 s3, ttmp7, 16
	s_add_co_i32 s2, s2, 1
	s_bfe_u32 s4, ttmp6, 0x40008
	s_mul_i32 s2, s3, s2
	s_getreg_b32 s14, hwreg(HW_REG_IB_STS2, 6, 4)
	s_add_co_i32 s4, s4, s2
	s_cmp_eq_u32 s14, 0
	s_cselect_b32 s13, s3, s4
	s_wait_kmcnt 0x0
	s_cmp_ge_u32 s13, s12
	s_cbranch_scc1 .LBB77_9
; %bb.1:
	s_clause 0x1
	s_load_b64 s[2:3], s[0:1], 0x0
	s_load_b128 s[4:7], s[0:1], 0x10
	s_bfe_u32 s8, ttmp6, 0x4000c
	s_and_b32 s15, ttmp6, 15
	s_add_co_i32 s8, s8, 1
	v_dual_mov_b32 v3, 0 :: v_dual_lshlrev_b32 v0, 1, v0
	s_mul_i32 s16, ttmp9, s8
	s_load_b128 s[8:11], s[0:1], 0x28
	s_add_co_i32 s15, s15, s16
	s_cmp_eq_u32 s14, 0
	s_wait_xcnt 0x0
	s_cselect_b32 s0, ttmp9, s15
	s_delay_alu instid0(SALU_CYCLE_1) | instskip(NEXT) | instid1(VALU_DEP_1)
	v_lshl_or_b32 v2, s0, 9, v0
	v_lshlrev_b64_e32 v[0:1], 2, v[2:3]
	s_wait_kmcnt 0x0
	s_cmp_neq_f32 s3, 0
	s_cselect_b32 s1, -1, 0
	s_add_co_i32 s14, s2, -1
	s_delay_alu instid0(SALU_CYCLE_1)
	s_ashr_i32 s15, s14, 31
	s_bitcmp1_b32 s2, 0
	v_cmp_eq_u64_e32 vcc_lo, s[14:15], v[2:3]
	v_cmp_gt_i64_e64 s0, s[14:15], v[2:3]
	s_cselect_b32 s2, -1, 0
	s_lshl_b64 s[6:7], s[6:7], 2
	s_lshl_b64 s[10:11], s[10:11], 2
	s_and_b32 s2, s2, vcc_lo
	s_branch .LBB77_4
.LBB77_2:                               ;   in Loop: Header=BB77_4 Depth=1
	s_wait_xcnt 0x0
	s_or_b32 exec_lo, exec_lo, s14
.LBB77_3:                               ;   in Loop: Header=BB77_4 Depth=1
	s_add_co_i32 s13, s13, 0x10000
	s_delay_alu instid0(SALU_CYCLE_1)
	s_cmp_lt_u32 s13, s12
	s_cbranch_scc0 .LBB77_9
.LBB77_4:                               ; =>This Inner Loop Header: Depth=1
	s_and_not1_b32 vcc_lo, exec_lo, s1
	s_cbranch_vccnz .LBB77_3
; %bb.5:                                ;   in Loop: Header=BB77_4 Depth=1
	s_load_b64 s[14:15], s[8:9], s13 offset:0x0 scale_offset
	s_load_b64 s[16:17], s[4:5], s13 offset:0x0 scale_offset
	s_wait_kmcnt 0x0
	s_add_nc_u64 s[14:15], s[14:15], s[10:11]
	s_add_nc_u64 s[16:17], s[16:17], s[6:7]
	v_add_nc_u64_e32 v[2:3], s[14:15], v[0:1]
	v_add_nc_u64_e32 v[4:5], s[16:17], v[0:1]
	s_and_saveexec_b32 s14, s0
	s_cbranch_execz .LBB77_7
; %bb.6:                                ;   in Loop: Header=BB77_4 Depth=1
	flat_load_b64 v[6:7], v[2:3]
	flat_load_b32 v8, v[4:5]
	s_wait_loadcnt_dscnt 0x0
	v_fma_f32 v6, s3, v8, v6
	flat_store_b32 v[2:3], v6
	flat_load_b32 v6, v[4:5] offset:4
	s_wait_loadcnt_dscnt 0x0
	v_fmac_f32_e32 v7, s3, v6
	flat_store_b32 v[2:3], v7 offset:4
.LBB77_7:                               ;   in Loop: Header=BB77_4 Depth=1
	s_wait_xcnt 0x0
	s_or_b32 exec_lo, exec_lo, s14
	s_and_saveexec_b32 s14, s2
	s_cbranch_execz .LBB77_2
; %bb.8:                                ;   in Loop: Header=BB77_4 Depth=1
	flat_load_b32 v6, v[2:3]
	flat_load_b32 v7, v[4:5]
	s_wait_loadcnt_dscnt 0x0
	v_fmac_f32_e32 v6, s3, v7
	flat_store_b32 v[2:3], v6
	s_branch .LBB77_2
.LBB77_9:
	s_endpgm
	.section	.rodata,"a",@progbits
	.p2align	6, 0x0
	.amdhsa_kernel _ZL22rocblas_saxpy_2_kernelILi256EffPKPKfPKPfEviT1_lT2_llT3_lli
		.amdhsa_group_segment_fixed_size 0
		.amdhsa_private_segment_fixed_size 0
		.amdhsa_kernarg_size 68
		.amdhsa_user_sgpr_count 2
		.amdhsa_user_sgpr_dispatch_ptr 0
		.amdhsa_user_sgpr_queue_ptr 0
		.amdhsa_user_sgpr_kernarg_segment_ptr 1
		.amdhsa_user_sgpr_dispatch_id 0
		.amdhsa_user_sgpr_kernarg_preload_length 0
		.amdhsa_user_sgpr_kernarg_preload_offset 0
		.amdhsa_user_sgpr_private_segment_size 0
		.amdhsa_wavefront_size32 1
		.amdhsa_uses_dynamic_stack 0
		.amdhsa_enable_private_segment 0
		.amdhsa_system_sgpr_workgroup_id_x 1
		.amdhsa_system_sgpr_workgroup_id_y 0
		.amdhsa_system_sgpr_workgroup_id_z 1
		.amdhsa_system_sgpr_workgroup_info 0
		.amdhsa_system_vgpr_workitem_id 0
		.amdhsa_next_free_vgpr 9
		.amdhsa_next_free_sgpr 18
		.amdhsa_named_barrier_count 0
		.amdhsa_reserve_vcc 1
		.amdhsa_float_round_mode_32 0
		.amdhsa_float_round_mode_16_64 0
		.amdhsa_float_denorm_mode_32 3
		.amdhsa_float_denorm_mode_16_64 3
		.amdhsa_fp16_overflow 0
		.amdhsa_memory_ordered 1
		.amdhsa_forward_progress 1
		.amdhsa_inst_pref_size 4
		.amdhsa_round_robin_scheduling 0
		.amdhsa_exception_fp_ieee_invalid_op 0
		.amdhsa_exception_fp_denorm_src 0
		.amdhsa_exception_fp_ieee_div_zero 0
		.amdhsa_exception_fp_ieee_overflow 0
		.amdhsa_exception_fp_ieee_underflow 0
		.amdhsa_exception_fp_ieee_inexact 0
		.amdhsa_exception_int_div_zero 0
	.end_amdhsa_kernel
	.section	.text._ZL22rocblas_saxpy_2_kernelILi256EffPKPKfPKPfEviT1_lT2_llT3_lli,"axG",@progbits,_ZL22rocblas_saxpy_2_kernelILi256EffPKPKfPKPfEviT1_lT2_llT3_lli,comdat
.Lfunc_end77:
	.size	_ZL22rocblas_saxpy_2_kernelILi256EffPKPKfPKPfEviT1_lT2_llT3_lli, .Lfunc_end77-_ZL22rocblas_saxpy_2_kernelILi256EffPKPKfPKPfEviT1_lT2_llT3_lli
                                        ; -- End function
	.set _ZL22rocblas_saxpy_2_kernelILi256EffPKPKfPKPfEviT1_lT2_llT3_lli.num_vgpr, 9
	.set _ZL22rocblas_saxpy_2_kernelILi256EffPKPKfPKPfEviT1_lT2_llT3_lli.num_agpr, 0
	.set _ZL22rocblas_saxpy_2_kernelILi256EffPKPKfPKPfEviT1_lT2_llT3_lli.numbered_sgpr, 18
	.set _ZL22rocblas_saxpy_2_kernelILi256EffPKPKfPKPfEviT1_lT2_llT3_lli.num_named_barrier, 0
	.set _ZL22rocblas_saxpy_2_kernelILi256EffPKPKfPKPfEviT1_lT2_llT3_lli.private_seg_size, 0
	.set _ZL22rocblas_saxpy_2_kernelILi256EffPKPKfPKPfEviT1_lT2_llT3_lli.uses_vcc, 1
	.set _ZL22rocblas_saxpy_2_kernelILi256EffPKPKfPKPfEviT1_lT2_llT3_lli.uses_flat_scratch, 0
	.set _ZL22rocblas_saxpy_2_kernelILi256EffPKPKfPKPfEviT1_lT2_llT3_lli.has_dyn_sized_stack, 0
	.set _ZL22rocblas_saxpy_2_kernelILi256EffPKPKfPKPfEviT1_lT2_llT3_lli.has_recursion, 0
	.set _ZL22rocblas_saxpy_2_kernelILi256EffPKPKfPKPfEviT1_lT2_llT3_lli.has_indirect_call, 0
	.section	.AMDGPU.csdata,"",@progbits
; Kernel info:
; codeLenInByte = 440
; TotalNumSgprs: 20
; NumVgprs: 9
; ScratchSize: 0
; MemoryBound: 0
; FloatMode: 240
; IeeeMode: 1
; LDSByteSize: 0 bytes/workgroup (compile time only)
; SGPRBlocks: 0
; VGPRBlocks: 0
; NumSGPRsForWavesPerEU: 20
; NumVGPRsForWavesPerEU: 9
; NamedBarCnt: 0
; Occupancy: 16
; WaveLimiterHint : 1
; COMPUTE_PGM_RSRC2:SCRATCH_EN: 0
; COMPUTE_PGM_RSRC2:USER_SGPR: 2
; COMPUTE_PGM_RSRC2:TRAP_HANDLER: 0
; COMPUTE_PGM_RSRC2:TGID_X_EN: 1
; COMPUTE_PGM_RSRC2:TGID_Y_EN: 0
; COMPUTE_PGM_RSRC2:TGID_Z_EN: 1
; COMPUTE_PGM_RSRC2:TIDIG_COMP_CNT: 0
	.section	.text._ZL27rocblas_axpy_kernel_batchedIiLi128ELi8EfPKfPKS1_PKPfEviT3_lT4_lT_lT5_lS9_li,"axG",@progbits,_ZL27rocblas_axpy_kernel_batchedIiLi128ELi8EfPKfPKS1_PKPfEviT3_lT4_lT_lT5_lS9_li,comdat
	.globl	_ZL27rocblas_axpy_kernel_batchedIiLi128ELi8EfPKfPKS1_PKPfEviT3_lT4_lT_lT5_lS9_li ; -- Begin function _ZL27rocblas_axpy_kernel_batchedIiLi128ELi8EfPKfPKS1_PKPfEviT3_lT4_lT_lT5_lS9_li
	.p2align	8
	.type	_ZL27rocblas_axpy_kernel_batchedIiLi128ELi8EfPKfPKS1_PKPfEviT3_lT4_lT_lT5_lS9_li,@function
_ZL27rocblas_axpy_kernel_batchedIiLi128ELi8EfPKfPKS1_PKPfEviT3_lT4_lT_lT5_lS9_li: ; @_ZL27rocblas_axpy_kernel_batchedIiLi128ELi8EfPKfPKS1_PKPfEviT3_lT4_lT_lT5_lS9_li
; %bb.0:
	s_load_b32 s4, s[0:1], 0x0
	s_bfe_u32 s2, ttmp6, 0x4000c
	s_and_b32 s5, ttmp6, 15
	s_add_co_i32 s2, s2, 1
	s_getreg_b32 s3, hwreg(HW_REG_IB_STS2, 6, 4)
	s_mul_i32 s2, ttmp9, s2
	v_and_b32_e32 v1, 0x3ff, v0
	s_add_co_i32 s2, s5, s2
	v_mov_b32_e32 v5, 0
	s_wait_kmcnt 0x0
	s_ashr_i32 s5, s4, 31
	s_cmp_eq_u32 s3, 0
	s_cselect_b32 s2, ttmp9, s2
	s_delay_alu instid0(SALU_CYCLE_1) | instskip(SKIP_1) | instid1(VALU_DEP_1)
	v_lshl_add_u32 v4, s2, 7, v1
	s_mov_b32 s2, exec_lo
	v_cmpx_gt_i64_e64 s[4:5], v[4:5]
	s_cbranch_execz .LBB78_15
; %bb.1:
	s_load_b32 s2, s[0:1], 0x58
	s_bfe_u32 s4, ttmp6, 0x40014
	v_lshrrev_b32_e32 v0, 8, v0
	s_lshr_b32 s5, ttmp7, 16
	s_add_co_i32 s4, s4, 1
	s_bfe_u32 s6, ttmp6, 0x40008
	s_mul_i32 s4, s5, s4
	v_and_b32_e32 v0, 0xffc, v0
	s_add_co_i32 s6, s6, s4
	s_cmp_eq_u32 s3, 0
	s_cselect_b32 s3, s5, s6
	s_delay_alu instid0(VALU_DEP_1) | instid1(SALU_CYCLE_1)
	v_lshl_add_u32 v0, s3, 5, v0
	s_wait_kmcnt 0x0
	s_delay_alu instid0(VALU_DEP_1)
	v_cmp_gt_u32_e32 vcc_lo, s2, v0
	s_and_b32 exec_lo, exec_lo, vcc_lo
	s_cbranch_execz .LBB78_15
; %bb.2:
	s_clause 0x3
	s_load_b32 s4, s[0:1], 0x28
	s_load_b32 s6, s[0:1], 0x48
	s_load_b128 s[12:15], s[0:1], 0x38
	s_load_b32 s3, s[0:1], 0x68
	v_mov_b32_e32 v1, 0
	s_wait_kmcnt 0x0
	s_ashr_i32 s5, s4, 31
	s_ashr_i32 s7, s6, 31
	v_mul_u64_e32 v[2:3], s[4:5], v[4:5]
	v_mul_u64_e32 v[4:5], s[6:7], v[4:5]
	s_load_b256 s[4:11], s[0:1], 0x8
	s_wait_xcnt 0x0
	s_lshl_b32 s0, s3, 5
	s_mov_b32 s1, 0
	s_branch .LBB78_4
.LBB78_3:                               ;   in Loop: Header=BB78_4 Depth=1
	s_wait_xcnt 0x0
	s_or_b32 exec_lo, exec_lo, s3
	v_add_nc_u32_e32 v0, s0, v0
	s_delay_alu instid0(VALU_DEP_1) | instskip(SKIP_1) | instid1(SALU_CYCLE_1)
	v_cmp_le_u32_e32 vcc_lo, s2, v0
	s_or_b32 s1, vcc_lo, s1
	s_and_not1_b32 exec_lo, exec_lo, s1
	s_cbranch_execz .LBB78_15
.LBB78_4:                               ; =>This Inner Loop Header: Depth=1
	s_wait_kmcnt 0x0
	v_mul_u64_e32 v[6:7], s[6:7], v[0:1]
	s_mov_b32 s3, exec_lo
	s_delay_alu instid0(VALU_DEP_1)
	v_lshl_add_u64 v[6:7], v[6:7], 2, s[4:5]
	global_load_b32 v6, v[6:7], off
	s_wait_loadcnt 0x0
	s_wait_xcnt 0x0
	v_cmpx_neq_f32_e32 0, v6
	s_cbranch_execz .LBB78_6
; %bb.5:                                ;   in Loop: Header=BB78_4 Depth=1
	v_lshlrev_b64_e32 v[8:9], 3, v[0:1]
	s_delay_alu instid0(VALU_DEP_1)
	v_add_nc_u64_e32 v[10:11], s[12:13], v[8:9]
	v_add_nc_u64_e32 v[8:9], s[8:9], v[8:9]
	global_load_b64 v[12:13], v[10:11], off
	global_load_b64 v[14:15], v[8:9], off
	s_wait_loadcnt 0x1
	s_wait_xcnt 0x0
	v_lshl_add_u64 v[8:9], s[14:15], 2, v[12:13]
	s_wait_loadcnt 0x0
	v_lshl_add_u64 v[10:11], s[10:11], 2, v[14:15]
	s_delay_alu instid0(VALU_DEP_2) | instskip(NEXT) | instid1(VALU_DEP_2)
	v_lshl_add_u64 v[8:9], v[4:5], 2, v[8:9]
	v_lshl_add_u64 v[10:11], v[2:3], 2, v[10:11]
	flat_load_b32 v7, v[8:9]
	flat_load_b32 v12, v[10:11]
	s_wait_loadcnt_dscnt 0x0
	v_fmac_f32_e32 v7, v6, v12
	flat_store_b32 v[8:9], v7
.LBB78_6:                               ;   in Loop: Header=BB78_4 Depth=1
	s_wait_xcnt 0x0
	s_or_b32 exec_lo, exec_lo, s3
	v_add_nc_u32_e32 v6, 1, v0
	s_mov_b32 s3, exec_lo
	s_delay_alu instid0(VALU_DEP_1)
	v_cmpx_gt_u32_e64 s2, v6
	s_cbranch_execz .LBB78_9
; %bb.7:                                ;   in Loop: Header=BB78_4 Depth=1
	v_mov_b32_e32 v7, v1
	s_delay_alu instid0(VALU_DEP_1) | instskip(NEXT) | instid1(VALU_DEP_1)
	v_mul_u64_e32 v[6:7], s[6:7], v[6:7]
	v_lshl_add_u64 v[6:7], v[6:7], 2, s[4:5]
	global_load_b32 v6, v[6:7], off
	s_wait_loadcnt 0x0
	v_cmp_neq_f32_e32 vcc_lo, 0, v6
	s_wait_xcnt 0x0
	s_and_b32 exec_lo, exec_lo, vcc_lo
	s_cbranch_execz .LBB78_9
; %bb.8:                                ;   in Loop: Header=BB78_4 Depth=1
	v_lshlrev_b64_e32 v[8:9], 3, v[0:1]
	s_delay_alu instid0(VALU_DEP_1)
	v_add_nc_u64_e32 v[10:11], s[12:13], v[8:9]
	v_add_nc_u64_e32 v[8:9], s[8:9], v[8:9]
	global_load_b64 v[12:13], v[10:11], off offset:8
	global_load_b64 v[14:15], v[8:9], off offset:8
	s_wait_loadcnt 0x1
	s_wait_xcnt 0x0
	v_lshl_add_u64 v[8:9], s[14:15], 2, v[12:13]
	s_wait_loadcnt 0x0
	v_lshl_add_u64 v[10:11], s[10:11], 2, v[14:15]
	s_delay_alu instid0(VALU_DEP_2) | instskip(NEXT) | instid1(VALU_DEP_2)
	v_lshl_add_u64 v[8:9], v[4:5], 2, v[8:9]
	v_lshl_add_u64 v[10:11], v[2:3], 2, v[10:11]
	flat_load_b32 v7, v[8:9]
	flat_load_b32 v12, v[10:11]
	s_wait_loadcnt_dscnt 0x0
	v_fmac_f32_e32 v7, v6, v12
	flat_store_b32 v[8:9], v7
.LBB78_9:                               ;   in Loop: Header=BB78_4 Depth=1
	s_wait_xcnt 0x0
	s_or_b32 exec_lo, exec_lo, s3
	v_add_nc_u32_e32 v6, 2, v0
	s_mov_b32 s3, exec_lo
	s_delay_alu instid0(VALU_DEP_1)
	v_cmpx_gt_u32_e64 s2, v6
	s_cbranch_execz .LBB78_12
; %bb.10:                               ;   in Loop: Header=BB78_4 Depth=1
	v_mov_b32_e32 v7, v1
	s_delay_alu instid0(VALU_DEP_1) | instskip(NEXT) | instid1(VALU_DEP_1)
	v_mul_u64_e32 v[6:7], s[6:7], v[6:7]
	v_lshl_add_u64 v[6:7], v[6:7], 2, s[4:5]
	global_load_b32 v6, v[6:7], off
	s_wait_loadcnt 0x0
	v_cmp_neq_f32_e32 vcc_lo, 0, v6
	s_wait_xcnt 0x0
	s_and_b32 exec_lo, exec_lo, vcc_lo
	s_cbranch_execz .LBB78_12
; %bb.11:                               ;   in Loop: Header=BB78_4 Depth=1
	v_lshlrev_b64_e32 v[8:9], 3, v[0:1]
	s_delay_alu instid0(VALU_DEP_1)
	v_add_nc_u64_e32 v[10:11], s[12:13], v[8:9]
	v_add_nc_u64_e32 v[8:9], s[8:9], v[8:9]
	global_load_b64 v[12:13], v[10:11], off offset:16
	global_load_b64 v[14:15], v[8:9], off offset:16
	s_wait_loadcnt 0x1
	s_wait_xcnt 0x0
	v_lshl_add_u64 v[8:9], s[14:15], 2, v[12:13]
	s_wait_loadcnt 0x0
	v_lshl_add_u64 v[10:11], s[10:11], 2, v[14:15]
	s_delay_alu instid0(VALU_DEP_2) | instskip(NEXT) | instid1(VALU_DEP_2)
	v_lshl_add_u64 v[8:9], v[4:5], 2, v[8:9]
	v_lshl_add_u64 v[10:11], v[2:3], 2, v[10:11]
	flat_load_b32 v7, v[8:9]
	flat_load_b32 v12, v[10:11]
	s_wait_loadcnt_dscnt 0x0
	v_fmac_f32_e32 v7, v6, v12
	flat_store_b32 v[8:9], v7
.LBB78_12:                              ;   in Loop: Header=BB78_4 Depth=1
	s_wait_xcnt 0x0
	s_or_b32 exec_lo, exec_lo, s3
	v_add_nc_u32_e32 v6, 3, v0
	s_mov_b32 s3, exec_lo
	s_delay_alu instid0(VALU_DEP_1)
	v_cmpx_gt_u32_e64 s2, v6
	s_cbranch_execz .LBB78_3
; %bb.13:                               ;   in Loop: Header=BB78_4 Depth=1
	v_mov_b32_e32 v7, v1
	s_delay_alu instid0(VALU_DEP_1) | instskip(NEXT) | instid1(VALU_DEP_1)
	v_mul_u64_e32 v[6:7], s[6:7], v[6:7]
	v_lshl_add_u64 v[6:7], v[6:7], 2, s[4:5]
	global_load_b32 v6, v[6:7], off
	s_wait_loadcnt 0x0
	v_cmp_neq_f32_e32 vcc_lo, 0, v6
	s_wait_xcnt 0x0
	s_and_b32 exec_lo, exec_lo, vcc_lo
	s_cbranch_execz .LBB78_3
; %bb.14:                               ;   in Loop: Header=BB78_4 Depth=1
	v_lshlrev_b64_e32 v[8:9], 3, v[0:1]
	s_delay_alu instid0(VALU_DEP_1)
	v_add_nc_u64_e32 v[10:11], s[12:13], v[8:9]
	v_add_nc_u64_e32 v[8:9], s[8:9], v[8:9]
	global_load_b64 v[12:13], v[10:11], off offset:24
	global_load_b64 v[14:15], v[8:9], off offset:24
	s_wait_loadcnt 0x1
	s_wait_xcnt 0x0
	v_lshl_add_u64 v[8:9], s[14:15], 2, v[12:13]
	s_wait_loadcnt 0x0
	v_lshl_add_u64 v[10:11], s[10:11], 2, v[14:15]
	s_delay_alu instid0(VALU_DEP_2) | instskip(NEXT) | instid1(VALU_DEP_2)
	v_lshl_add_u64 v[8:9], v[4:5], 2, v[8:9]
	v_lshl_add_u64 v[10:11], v[2:3], 2, v[10:11]
	flat_load_b32 v7, v[8:9]
	flat_load_b32 v12, v[10:11]
	s_wait_loadcnt_dscnt 0x0
	v_fmac_f32_e32 v7, v6, v12
	flat_store_b32 v[8:9], v7
	s_branch .LBB78_3
.LBB78_15:
	s_endpgm
	.section	.rodata,"a",@progbits
	.p2align	6, 0x0
	.amdhsa_kernel _ZL27rocblas_axpy_kernel_batchedIiLi128ELi8EfPKfPKS1_PKPfEviT3_lT4_lT_lT5_lS9_li
		.amdhsa_group_segment_fixed_size 0
		.amdhsa_private_segment_fixed_size 0
		.amdhsa_kernarg_size 352
		.amdhsa_user_sgpr_count 2
		.amdhsa_user_sgpr_dispatch_ptr 0
		.amdhsa_user_sgpr_queue_ptr 0
		.amdhsa_user_sgpr_kernarg_segment_ptr 1
		.amdhsa_user_sgpr_dispatch_id 0
		.amdhsa_user_sgpr_kernarg_preload_length 0
		.amdhsa_user_sgpr_kernarg_preload_offset 0
		.amdhsa_user_sgpr_private_segment_size 0
		.amdhsa_wavefront_size32 1
		.amdhsa_uses_dynamic_stack 0
		.amdhsa_enable_private_segment 0
		.amdhsa_system_sgpr_workgroup_id_x 1
		.amdhsa_system_sgpr_workgroup_id_y 0
		.amdhsa_system_sgpr_workgroup_id_z 1
		.amdhsa_system_sgpr_workgroup_info 0
		.amdhsa_system_vgpr_workitem_id 1
		.amdhsa_next_free_vgpr 16
		.amdhsa_next_free_sgpr 16
		.amdhsa_named_barrier_count 0
		.amdhsa_reserve_vcc 1
		.amdhsa_float_round_mode_32 0
		.amdhsa_float_round_mode_16_64 0
		.amdhsa_float_denorm_mode_32 3
		.amdhsa_float_denorm_mode_16_64 3
		.amdhsa_fp16_overflow 0
		.amdhsa_memory_ordered 1
		.amdhsa_forward_progress 1
		.amdhsa_inst_pref_size 9
		.amdhsa_round_robin_scheduling 0
		.amdhsa_exception_fp_ieee_invalid_op 0
		.amdhsa_exception_fp_denorm_src 0
		.amdhsa_exception_fp_ieee_div_zero 0
		.amdhsa_exception_fp_ieee_overflow 0
		.amdhsa_exception_fp_ieee_underflow 0
		.amdhsa_exception_fp_ieee_inexact 0
		.amdhsa_exception_int_div_zero 0
	.end_amdhsa_kernel
	.section	.text._ZL27rocblas_axpy_kernel_batchedIiLi128ELi8EfPKfPKS1_PKPfEviT3_lT4_lT_lT5_lS9_li,"axG",@progbits,_ZL27rocblas_axpy_kernel_batchedIiLi128ELi8EfPKfPKS1_PKPfEviT3_lT4_lT_lT5_lS9_li,comdat
.Lfunc_end78:
	.size	_ZL27rocblas_axpy_kernel_batchedIiLi128ELi8EfPKfPKS1_PKPfEviT3_lT4_lT_lT5_lS9_li, .Lfunc_end78-_ZL27rocblas_axpy_kernel_batchedIiLi128ELi8EfPKfPKS1_PKPfEviT3_lT4_lT_lT5_lS9_li
                                        ; -- End function
	.set _ZL27rocblas_axpy_kernel_batchedIiLi128ELi8EfPKfPKS1_PKPfEviT3_lT4_lT_lT5_lS9_li.num_vgpr, 16
	.set _ZL27rocblas_axpy_kernel_batchedIiLi128ELi8EfPKfPKS1_PKPfEviT3_lT4_lT_lT5_lS9_li.num_agpr, 0
	.set _ZL27rocblas_axpy_kernel_batchedIiLi128ELi8EfPKfPKS1_PKPfEviT3_lT4_lT_lT5_lS9_li.numbered_sgpr, 16
	.set _ZL27rocblas_axpy_kernel_batchedIiLi128ELi8EfPKfPKS1_PKPfEviT3_lT4_lT_lT5_lS9_li.num_named_barrier, 0
	.set _ZL27rocblas_axpy_kernel_batchedIiLi128ELi8EfPKfPKS1_PKPfEviT3_lT4_lT_lT5_lS9_li.private_seg_size, 0
	.set _ZL27rocblas_axpy_kernel_batchedIiLi128ELi8EfPKfPKS1_PKPfEviT3_lT4_lT_lT5_lS9_li.uses_vcc, 1
	.set _ZL27rocblas_axpy_kernel_batchedIiLi128ELi8EfPKfPKS1_PKPfEviT3_lT4_lT_lT5_lS9_li.uses_flat_scratch, 0
	.set _ZL27rocblas_axpy_kernel_batchedIiLi128ELi8EfPKfPKS1_PKPfEviT3_lT4_lT_lT5_lS9_li.has_dyn_sized_stack, 0
	.set _ZL27rocblas_axpy_kernel_batchedIiLi128ELi8EfPKfPKS1_PKPfEviT3_lT4_lT_lT5_lS9_li.has_recursion, 0
	.set _ZL27rocblas_axpy_kernel_batchedIiLi128ELi8EfPKfPKS1_PKPfEviT3_lT4_lT_lT5_lS9_li.has_indirect_call, 0
	.section	.AMDGPU.csdata,"",@progbits
; Kernel info:
; codeLenInByte = 1140
; TotalNumSgprs: 18
; NumVgprs: 16
; ScratchSize: 0
; MemoryBound: 0
; FloatMode: 240
; IeeeMode: 1
; LDSByteSize: 0 bytes/workgroup (compile time only)
; SGPRBlocks: 0
; VGPRBlocks: 0
; NumSGPRsForWavesPerEU: 18
; NumVGPRsForWavesPerEU: 16
; NamedBarCnt: 0
; Occupancy: 16
; WaveLimiterHint : 1
; COMPUTE_PGM_RSRC2:SCRATCH_EN: 0
; COMPUTE_PGM_RSRC2:USER_SGPR: 2
; COMPUTE_PGM_RSRC2:TRAP_HANDLER: 0
; COMPUTE_PGM_RSRC2:TGID_X_EN: 1
; COMPUTE_PGM_RSRC2:TGID_Y_EN: 0
; COMPUTE_PGM_RSRC2:TGID_Z_EN: 1
; COMPUTE_PGM_RSRC2:TIDIG_COMP_CNT: 1
	.section	.text._ZL27rocblas_axpy_kernel_batchedIiLi128ELi8EffPKPKfPKPfEviT3_lT4_lT_lT5_lS9_li,"axG",@progbits,_ZL27rocblas_axpy_kernel_batchedIiLi128ELi8EffPKPKfPKPfEviT3_lT4_lT_lT5_lS9_li,comdat
	.globl	_ZL27rocblas_axpy_kernel_batchedIiLi128ELi8EffPKPKfPKPfEviT3_lT4_lT_lT5_lS9_li ; -- Begin function _ZL27rocblas_axpy_kernel_batchedIiLi128ELi8EffPKPKfPKPfEviT3_lT4_lT_lT5_lS9_li
	.p2align	8
	.type	_ZL27rocblas_axpy_kernel_batchedIiLi128ELi8EffPKPKfPKPfEviT3_lT4_lT_lT5_lS9_li,@function
_ZL27rocblas_axpy_kernel_batchedIiLi128ELi8EffPKPKfPKPfEviT3_lT4_lT_lT5_lS9_li: ; @_ZL27rocblas_axpy_kernel_batchedIiLi128ELi8EffPKPKfPKPfEviT3_lT4_lT_lT5_lS9_li
; %bb.0:
	s_load_b64 s[2:3], s[0:1], 0x0
	s_bfe_u32 s4, ttmp6, 0x4000c
	s_and_b32 s5, ttmp6, 15
	s_add_co_i32 s6, s4, 1
	s_getreg_b32 s4, hwreg(HW_REG_IB_STS2, 6, 4)
	s_mul_i32 s6, ttmp9, s6
	v_and_b32_e32 v1, 0x3ff, v0
	s_add_co_i32 s5, s5, s6
	s_cmp_eq_u32 s4, 0
	v_mov_b32_e32 v3, 0
	s_cselect_b32 s5, ttmp9, s5
	s_delay_alu instid0(SALU_CYCLE_1)
	v_lshl_add_u32 v2, s5, 7, v1
	s_wait_kmcnt 0x0
	s_ashr_i32 s7, s2, 31
	s_mov_b32 s6, s2
	s_mov_b32 s2, exec_lo
	v_cmpx_gt_i64_e64 s[6:7], v[2:3]
	s_cbranch_execz .LBB79_12
; %bb.1:
	s_load_b32 s2, s[0:1], 0x50
	s_bfe_u32 s5, ttmp6, 0x40014
	v_lshrrev_b32_e32 v0, 8, v0
	s_lshr_b32 s6, ttmp7, 16
	s_add_co_i32 s5, s5, 1
	s_bfe_u32 s7, ttmp6, 0x40008
	s_mul_i32 s5, s6, s5
	v_and_b32_e32 v0, 0xffc, v0
	s_add_co_i32 s7, s7, s5
	s_cmp_eq_u32 s4, 0
	s_cselect_b32 s4, s6, s7
	s_delay_alu instid0(VALU_DEP_1) | instid1(SALU_CYCLE_1)
	v_lshl_add_u32 v4, s4, 5, v0
	s_wait_kmcnt 0x0
	s_delay_alu instid0(VALU_DEP_1)
	v_cmp_gt_u32_e32 vcc_lo, s2, v4
	s_and_b32 exec_lo, exec_lo, vcc_lo
	s_cbranch_execz .LBB79_12
; %bb.2:
	s_clause 0x2
	s_load_b32 s4, s[0:1], 0x20
	s_load_b32 s6, s[0:1], 0x40
	;; [unrolled: 1-line block ×3, first 2 shown]
	s_wait_kmcnt 0x0
	s_ashr_i32 s5, s4, 31
	s_ashr_i32 s7, s6, 31
	v_mul_u64_e32 v[0:1], s[4:5], v[2:3]
	v_mul_u64_e32 v[2:3], s[6:7], v[2:3]
	s_clause 0x1
	s_load_b128 s[4:7], s[0:1], 0x10
	s_load_b128 s[8:11], s[0:1], 0x30
	s_cmp_neq_f32 s3, 0
	s_wait_xcnt 0x0
	s_mov_b32 s1, 0
	s_cselect_b32 s0, -1, 0
	s_lshl_b32 s12, s12, 5
	s_branch .LBB79_4
.LBB79_3:                               ;   in Loop: Header=BB79_4 Depth=1
	s_wait_xcnt 0x0
	s_or_b32 exec_lo, exec_lo, s13
	v_add_nc_u32_e32 v4, s12, v4
	s_delay_alu instid0(VALU_DEP_1) | instskip(SKIP_1) | instid1(SALU_CYCLE_1)
	v_cmp_le_u32_e32 vcc_lo, s2, v4
	s_or_b32 s1, vcc_lo, s1
	s_and_not1_b32 exec_lo, exec_lo, s1
	s_cbranch_execz .LBB79_12
.LBB79_4:                               ; =>This Inner Loop Header: Depth=1
	s_and_not1_b32 vcc_lo, exec_lo, s0
	s_cbranch_vccnz .LBB79_6
; %bb.5:                                ;   in Loop: Header=BB79_4 Depth=1
	s_wait_kmcnt 0x0
	s_clause 0x1
	global_load_b64 v[6:7], v4, s[8:9] scale_offset
	global_load_b64 v[8:9], v4, s[4:5] scale_offset
	s_wait_loadcnt 0x1
	v_lshl_add_u64 v[6:7], s[10:11], 2, v[6:7]
	s_wait_loadcnt 0x0
	v_lshl_add_u64 v[8:9], s[6:7], 2, v[8:9]
	s_delay_alu instid0(VALU_DEP_2) | instskip(NEXT) | instid1(VALU_DEP_2)
	v_lshl_add_u64 v[6:7], v[2:3], 2, v[6:7]
	v_lshl_add_u64 v[8:9], v[0:1], 2, v[8:9]
	flat_load_b32 v5, v[6:7]
	flat_load_b32 v10, v[8:9]
	s_wait_loadcnt_dscnt 0x0
	v_fmac_f32_e32 v5, s3, v10
	flat_store_b32 v[6:7], v5
.LBB79_6:                               ;   in Loop: Header=BB79_4 Depth=1
	s_wait_xcnt 0x0
	v_add_nc_u32_e32 v5, 1, v4
	s_delay_alu instid0(VALU_DEP_1) | instskip(SKIP_1) | instid1(SALU_CYCLE_1)
	v_cmp_gt_u32_e32 vcc_lo, s2, v5
	s_and_b32 s14, s0, vcc_lo
	s_and_saveexec_b32 s13, s14
	s_cbranch_execz .LBB79_8
; %bb.7:                                ;   in Loop: Header=BB79_4 Depth=1
	s_wait_kmcnt 0x0
	s_clause 0x1
	global_load_b64 v[6:7], v4, s[8:9] offset:8 scale_offset
	global_load_b64 v[8:9], v4, s[4:5] offset:8 scale_offset
	s_wait_loadcnt 0x1
	v_lshl_add_u64 v[6:7], s[10:11], 2, v[6:7]
	s_wait_loadcnt 0x0
	v_lshl_add_u64 v[8:9], s[6:7], 2, v[8:9]
	s_delay_alu instid0(VALU_DEP_2) | instskip(NEXT) | instid1(VALU_DEP_2)
	v_lshl_add_u64 v[6:7], v[2:3], 2, v[6:7]
	v_lshl_add_u64 v[8:9], v[0:1], 2, v[8:9]
	flat_load_b32 v5, v[6:7]
	flat_load_b32 v10, v[8:9]
	s_wait_loadcnt_dscnt 0x0
	v_fmac_f32_e32 v5, s3, v10
	flat_store_b32 v[6:7], v5
.LBB79_8:                               ;   in Loop: Header=BB79_4 Depth=1
	s_wait_xcnt 0x0
	s_or_b32 exec_lo, exec_lo, s13
	v_add_nc_u32_e32 v5, 2, v4
	s_delay_alu instid0(VALU_DEP_1) | instskip(SKIP_1) | instid1(SALU_CYCLE_1)
	v_cmp_gt_u32_e32 vcc_lo, s2, v5
	s_and_b32 s14, s0, vcc_lo
	s_and_saveexec_b32 s13, s14
	s_cbranch_execz .LBB79_10
; %bb.9:                                ;   in Loop: Header=BB79_4 Depth=1
	s_wait_kmcnt 0x0
	s_clause 0x1
	global_load_b64 v[6:7], v4, s[8:9] offset:16 scale_offset
	global_load_b64 v[8:9], v4, s[4:5] offset:16 scale_offset
	s_wait_loadcnt 0x1
	v_lshl_add_u64 v[6:7], s[10:11], 2, v[6:7]
	s_wait_loadcnt 0x0
	v_lshl_add_u64 v[8:9], s[6:7], 2, v[8:9]
	s_delay_alu instid0(VALU_DEP_2) | instskip(NEXT) | instid1(VALU_DEP_2)
	v_lshl_add_u64 v[6:7], v[2:3], 2, v[6:7]
	v_lshl_add_u64 v[8:9], v[0:1], 2, v[8:9]
	flat_load_b32 v5, v[6:7]
	flat_load_b32 v10, v[8:9]
	s_wait_loadcnt_dscnt 0x0
	v_fmac_f32_e32 v5, s3, v10
	flat_store_b32 v[6:7], v5
.LBB79_10:                              ;   in Loop: Header=BB79_4 Depth=1
	s_wait_xcnt 0x0
	s_or_b32 exec_lo, exec_lo, s13
	v_add_nc_u32_e32 v5, 3, v4
	s_delay_alu instid0(VALU_DEP_1) | instskip(SKIP_1) | instid1(SALU_CYCLE_1)
	v_cmp_gt_u32_e32 vcc_lo, s2, v5
	s_and_b32 s14, s0, vcc_lo
	s_and_saveexec_b32 s13, s14
	s_cbranch_execz .LBB79_3
; %bb.11:                               ;   in Loop: Header=BB79_4 Depth=1
	s_wait_kmcnt 0x0
	s_clause 0x1
	global_load_b64 v[6:7], v4, s[8:9] offset:24 scale_offset
	global_load_b64 v[8:9], v4, s[4:5] offset:24 scale_offset
	s_wait_loadcnt 0x1
	v_lshl_add_u64 v[6:7], s[10:11], 2, v[6:7]
	s_wait_loadcnt 0x0
	v_lshl_add_u64 v[8:9], s[6:7], 2, v[8:9]
	s_delay_alu instid0(VALU_DEP_2) | instskip(NEXT) | instid1(VALU_DEP_2)
	v_lshl_add_u64 v[6:7], v[2:3], 2, v[6:7]
	v_lshl_add_u64 v[8:9], v[0:1], 2, v[8:9]
	flat_load_b32 v5, v[6:7]
	flat_load_b32 v10, v[8:9]
	s_wait_loadcnt_dscnt 0x0
	v_fmac_f32_e32 v5, s3, v10
	flat_store_b32 v[6:7], v5
	s_branch .LBB79_3
.LBB79_12:
	s_endpgm
	.section	.rodata,"a",@progbits
	.p2align	6, 0x0
	.amdhsa_kernel _ZL27rocblas_axpy_kernel_batchedIiLi128ELi8EffPKPKfPKPfEviT3_lT4_lT_lT5_lS9_li
		.amdhsa_group_segment_fixed_size 0
		.amdhsa_private_segment_fixed_size 0
		.amdhsa_kernarg_size 344
		.amdhsa_user_sgpr_count 2
		.amdhsa_user_sgpr_dispatch_ptr 0
		.amdhsa_user_sgpr_queue_ptr 0
		.amdhsa_user_sgpr_kernarg_segment_ptr 1
		.amdhsa_user_sgpr_dispatch_id 0
		.amdhsa_user_sgpr_kernarg_preload_length 0
		.amdhsa_user_sgpr_kernarg_preload_offset 0
		.amdhsa_user_sgpr_private_segment_size 0
		.amdhsa_wavefront_size32 1
		.amdhsa_uses_dynamic_stack 0
		.amdhsa_enable_private_segment 0
		.amdhsa_system_sgpr_workgroup_id_x 1
		.amdhsa_system_sgpr_workgroup_id_y 0
		.amdhsa_system_sgpr_workgroup_id_z 1
		.amdhsa_system_sgpr_workgroup_info 0
		.amdhsa_system_vgpr_workitem_id 1
		.amdhsa_next_free_vgpr 11
		.amdhsa_next_free_sgpr 15
		.amdhsa_named_barrier_count 0
		.amdhsa_reserve_vcc 1
		.amdhsa_float_round_mode_32 0
		.amdhsa_float_round_mode_16_64 0
		.amdhsa_float_denorm_mode_32 3
		.amdhsa_float_denorm_mode_16_64 3
		.amdhsa_fp16_overflow 0
		.amdhsa_memory_ordered 1
		.amdhsa_forward_progress 1
		.amdhsa_inst_pref_size 8
		.amdhsa_round_robin_scheduling 0
		.amdhsa_exception_fp_ieee_invalid_op 0
		.amdhsa_exception_fp_denorm_src 0
		.amdhsa_exception_fp_ieee_div_zero 0
		.amdhsa_exception_fp_ieee_overflow 0
		.amdhsa_exception_fp_ieee_underflow 0
		.amdhsa_exception_fp_ieee_inexact 0
		.amdhsa_exception_int_div_zero 0
	.end_amdhsa_kernel
	.section	.text._ZL27rocblas_axpy_kernel_batchedIiLi128ELi8EffPKPKfPKPfEviT3_lT4_lT_lT5_lS9_li,"axG",@progbits,_ZL27rocblas_axpy_kernel_batchedIiLi128ELi8EffPKPKfPKPfEviT3_lT4_lT_lT5_lS9_li,comdat
.Lfunc_end79:
	.size	_ZL27rocblas_axpy_kernel_batchedIiLi128ELi8EffPKPKfPKPfEviT3_lT4_lT_lT5_lS9_li, .Lfunc_end79-_ZL27rocblas_axpy_kernel_batchedIiLi128ELi8EffPKPKfPKPfEviT3_lT4_lT_lT5_lS9_li
                                        ; -- End function
	.set _ZL27rocblas_axpy_kernel_batchedIiLi128ELi8EffPKPKfPKPfEviT3_lT4_lT_lT5_lS9_li.num_vgpr, 11
	.set _ZL27rocblas_axpy_kernel_batchedIiLi128ELi8EffPKPKfPKPfEviT3_lT4_lT_lT5_lS9_li.num_agpr, 0
	.set _ZL27rocblas_axpy_kernel_batchedIiLi128ELi8EffPKPKfPKPfEviT3_lT4_lT_lT5_lS9_li.numbered_sgpr, 15
	.set _ZL27rocblas_axpy_kernel_batchedIiLi128ELi8EffPKPKfPKPfEviT3_lT4_lT_lT5_lS9_li.num_named_barrier, 0
	.set _ZL27rocblas_axpy_kernel_batchedIiLi128ELi8EffPKPKfPKPfEviT3_lT4_lT_lT5_lS9_li.private_seg_size, 0
	.set _ZL27rocblas_axpy_kernel_batchedIiLi128ELi8EffPKPKfPKPfEviT3_lT4_lT_lT5_lS9_li.uses_vcc, 1
	.set _ZL27rocblas_axpy_kernel_batchedIiLi128ELi8EffPKPKfPKPfEviT3_lT4_lT_lT5_lS9_li.uses_flat_scratch, 0
	.set _ZL27rocblas_axpy_kernel_batchedIiLi128ELi8EffPKPKfPKPfEviT3_lT4_lT_lT5_lS9_li.has_dyn_sized_stack, 0
	.set _ZL27rocblas_axpy_kernel_batchedIiLi128ELi8EffPKPKfPKPfEviT3_lT4_lT_lT5_lS9_li.has_recursion, 0
	.set _ZL27rocblas_axpy_kernel_batchedIiLi128ELi8EffPKPKfPKPfEviT3_lT4_lT_lT5_lS9_li.has_indirect_call, 0
	.section	.AMDGPU.csdata,"",@progbits
; Kernel info:
; codeLenInByte = 900
; TotalNumSgprs: 17
; NumVgprs: 11
; ScratchSize: 0
; MemoryBound: 0
; FloatMode: 240
; IeeeMode: 1
; LDSByteSize: 0 bytes/workgroup (compile time only)
; SGPRBlocks: 0
; VGPRBlocks: 0
; NumSGPRsForWavesPerEU: 17
; NumVGPRsForWavesPerEU: 11
; NamedBarCnt: 0
; Occupancy: 16
; WaveLimiterHint : 1
; COMPUTE_PGM_RSRC2:SCRATCH_EN: 0
; COMPUTE_PGM_RSRC2:USER_SGPR: 2
; COMPUTE_PGM_RSRC2:TRAP_HANDLER: 0
; COMPUTE_PGM_RSRC2:TGID_X_EN: 1
; COMPUTE_PGM_RSRC2:TGID_Y_EN: 0
; COMPUTE_PGM_RSRC2:TGID_Z_EN: 1
; COMPUTE_PGM_RSRC2:TIDIG_COMP_CNT: 1
	.section	.text._ZL19rocblas_axpy_kernelIiLi256EfPKfPKS1_PKPfEviT2_lT3_lT_lT4_lS9_li,"axG",@progbits,_ZL19rocblas_axpy_kernelIiLi256EfPKfPKS1_PKPfEviT2_lT3_lT_lT4_lS9_li,comdat
	.globl	_ZL19rocblas_axpy_kernelIiLi256EfPKfPKS1_PKPfEviT2_lT3_lT_lT4_lS9_li ; -- Begin function _ZL19rocblas_axpy_kernelIiLi256EfPKfPKS1_PKPfEviT2_lT3_lT_lT4_lS9_li
	.p2align	8
	.type	_ZL19rocblas_axpy_kernelIiLi256EfPKfPKS1_PKPfEviT2_lT3_lT_lT4_lS9_li,@function
_ZL19rocblas_axpy_kernelIiLi256EfPKfPKS1_PKPfEviT2_lT3_lT_lT4_lS9_li: ; @_ZL19rocblas_axpy_kernelIiLi256EfPKfPKS1_PKPfEviT2_lT3_lT_lT4_lS9_li
; %bb.0:
	s_load_b32 s16, s[0:1], 0x58
	s_bfe_u32 s2, ttmp6, 0x40014
	s_lshr_b32 s3, ttmp7, 16
	s_add_co_i32 s2, s2, 1
	s_bfe_u32 s5, ttmp6, 0x40008
	s_mul_i32 s2, s3, s2
	s_getreg_b32 s4, hwreg(HW_REG_IB_STS2, 6, 4)
	s_add_co_i32 s5, s5, s2
	s_cmp_eq_u32 s4, 0
	s_cselect_b32 s2, s3, s5
	s_mov_b32 s3, 0
	s_wait_kmcnt 0x0
	s_cmp_ge_u32 s2, s16
	s_cbranch_scc1 .LBB80_5
; %bb.1:
	s_clause 0x2
	s_load_b32 s18, s[0:1], 0x0
	s_load_b32 s6, s[0:1], 0x48
	;; [unrolled: 1-line block ×3, first 2 shown]
	s_bfe_u32 s5, ttmp6, 0x4000c
	s_and_b32 s7, ttmp6, 15
	s_add_co_i32 s5, s5, 1
	v_mov_b32_e32 v1, 0
	s_mul_i32 s5, ttmp9, s5
	s_delay_alu instid0(SALU_CYCLE_1)
	s_add_co_i32 s5, s7, s5
	s_wait_kmcnt 0x0
	s_ashr_i32 s19, s18, 31
	s_ashr_i32 s7, s6, 31
	;; [unrolled: 1-line block ×3, first 2 shown]
	s_cmp_eq_u32 s4, 0
	s_cselect_b32 s4, ttmp9, s5
	s_delay_alu instid0(SALU_CYCLE_1) | instskip(NEXT) | instid1(VALU_DEP_1)
	v_lshl_or_b32 v0, s4, 8, v0
	v_mul_u64_e32 v[2:3], s[8:9], v[0:1]
	v_mul_u64_e32 v[4:5], s[6:7], v[0:1]
	s_clause 0x1
	s_load_b256 s[4:11], s[0:1], 0x8
	s_load_b128 s[12:15], s[0:1], 0x38
	v_cmp_gt_i64_e32 vcc_lo, s[18:19], v[0:1]
	s_wait_kmcnt 0x0
	s_lshl_b64 s[0:1], s[10:11], 2
	s_lshl_b64 s[10:11], s[14:15], 2
	s_branch .LBB80_3
.LBB80_2:                               ;   in Loop: Header=BB80_3 Depth=1
	s_wait_xcnt 0x0
	s_or_b32 exec_lo, exec_lo, s14
	s_add_co_i32 s2, s2, 0x10000
	s_delay_alu instid0(SALU_CYCLE_1)
	s_cmp_lt_u32 s2, s16
	s_cbranch_scc0 .LBB80_5
.LBB80_3:                               ; =>This Inner Loop Header: Depth=1
	s_mul_u64 s[14:15], s[6:7], s[2:3]
	s_delay_alu instid0(SALU_CYCLE_1) | instskip(NEXT) | instid1(SALU_CYCLE_1)
	s_lshl_b64 s[14:15], s[14:15], 2
	s_add_nc_u64 s[14:15], s[4:5], s[14:15]
	global_load_b32 v0, v1, s[14:15]
	s_wait_loadcnt 0x0
	s_wait_xcnt 0x0
	v_readfirstlane_b32 s14, v0
	s_cmp_neq_f32 s14, 0
	s_cselect_b32 s14, -1, 0
	s_delay_alu instid0(SALU_CYCLE_1) | instskip(NEXT) | instid1(SALU_CYCLE_1)
	s_and_b32 s15, vcc_lo, s14
	s_and_saveexec_b32 s14, s15
	s_cbranch_execz .LBB80_2
; %bb.4:                                ;   in Loop: Header=BB80_3 Depth=1
	s_lshl_b64 s[18:19], s[2:3], 3
	s_delay_alu instid0(SALU_CYCLE_1)
	s_add_nc_u64 s[20:21], s[12:13], s[18:19]
	s_add_nc_u64 s[18:19], s[8:9], s[18:19]
	s_load_b64 s[22:23], s[20:21], 0x0
	s_load_b64 s[24:25], s[18:19], 0x0
	s_wait_kmcnt 0x0
	s_wait_xcnt 0x0
	s_add_nc_u64 s[18:19], s[22:23], s[10:11]
	s_add_nc_u64 s[20:21], s[24:25], s[0:1]
	v_lshl_add_u64 v[6:7], v[4:5], 2, s[18:19]
	v_lshl_add_u64 v[8:9], v[2:3], 2, s[20:21]
	flat_load_b32 v10, v[6:7]
	flat_load_b32 v11, v[8:9]
	s_wait_loadcnt_dscnt 0x0
	v_fmac_f32_e32 v10, v0, v11
	flat_store_b32 v[6:7], v10
	s_branch .LBB80_2
.LBB80_5:
	s_endpgm
	.section	.rodata,"a",@progbits
	.p2align	6, 0x0
	.amdhsa_kernel _ZL19rocblas_axpy_kernelIiLi256EfPKfPKS1_PKPfEviT2_lT3_lT_lT4_lS9_li
		.amdhsa_group_segment_fixed_size 0
		.amdhsa_private_segment_fixed_size 0
		.amdhsa_kernarg_size 92
		.amdhsa_user_sgpr_count 2
		.amdhsa_user_sgpr_dispatch_ptr 0
		.amdhsa_user_sgpr_queue_ptr 0
		.amdhsa_user_sgpr_kernarg_segment_ptr 1
		.amdhsa_user_sgpr_dispatch_id 0
		.amdhsa_user_sgpr_kernarg_preload_length 0
		.amdhsa_user_sgpr_kernarg_preload_offset 0
		.amdhsa_user_sgpr_private_segment_size 0
		.amdhsa_wavefront_size32 1
		.amdhsa_uses_dynamic_stack 0
		.amdhsa_enable_private_segment 0
		.amdhsa_system_sgpr_workgroup_id_x 1
		.amdhsa_system_sgpr_workgroup_id_y 0
		.amdhsa_system_sgpr_workgroup_id_z 1
		.amdhsa_system_sgpr_workgroup_info 0
		.amdhsa_system_vgpr_workitem_id 0
		.amdhsa_next_free_vgpr 12
		.amdhsa_next_free_sgpr 26
		.amdhsa_named_barrier_count 0
		.amdhsa_reserve_vcc 1
		.amdhsa_float_round_mode_32 0
		.amdhsa_float_round_mode_16_64 0
		.amdhsa_float_denorm_mode_32 3
		.amdhsa_float_denorm_mode_16_64 3
		.amdhsa_fp16_overflow 0
		.amdhsa_memory_ordered 1
		.amdhsa_forward_progress 1
		.amdhsa_inst_pref_size 4
		.amdhsa_round_robin_scheduling 0
		.amdhsa_exception_fp_ieee_invalid_op 0
		.amdhsa_exception_fp_denorm_src 0
		.amdhsa_exception_fp_ieee_div_zero 0
		.amdhsa_exception_fp_ieee_overflow 0
		.amdhsa_exception_fp_ieee_underflow 0
		.amdhsa_exception_fp_ieee_inexact 0
		.amdhsa_exception_int_div_zero 0
	.end_amdhsa_kernel
	.section	.text._ZL19rocblas_axpy_kernelIiLi256EfPKfPKS1_PKPfEviT2_lT3_lT_lT4_lS9_li,"axG",@progbits,_ZL19rocblas_axpy_kernelIiLi256EfPKfPKS1_PKPfEviT2_lT3_lT_lT4_lS9_li,comdat
.Lfunc_end80:
	.size	_ZL19rocblas_axpy_kernelIiLi256EfPKfPKS1_PKPfEviT2_lT3_lT_lT4_lS9_li, .Lfunc_end80-_ZL19rocblas_axpy_kernelIiLi256EfPKfPKS1_PKPfEviT2_lT3_lT_lT4_lS9_li
                                        ; -- End function
	.set _ZL19rocblas_axpy_kernelIiLi256EfPKfPKS1_PKPfEviT2_lT3_lT_lT4_lS9_li.num_vgpr, 12
	.set _ZL19rocblas_axpy_kernelIiLi256EfPKfPKS1_PKPfEviT2_lT3_lT_lT4_lS9_li.num_agpr, 0
	.set _ZL19rocblas_axpy_kernelIiLi256EfPKfPKS1_PKPfEviT2_lT3_lT_lT4_lS9_li.numbered_sgpr, 26
	.set _ZL19rocblas_axpy_kernelIiLi256EfPKfPKS1_PKPfEviT2_lT3_lT_lT4_lS9_li.num_named_barrier, 0
	.set _ZL19rocblas_axpy_kernelIiLi256EfPKfPKS1_PKPfEviT2_lT3_lT_lT4_lS9_li.private_seg_size, 0
	.set _ZL19rocblas_axpy_kernelIiLi256EfPKfPKS1_PKPfEviT2_lT3_lT_lT4_lS9_li.uses_vcc, 1
	.set _ZL19rocblas_axpy_kernelIiLi256EfPKfPKS1_PKPfEviT2_lT3_lT_lT4_lS9_li.uses_flat_scratch, 0
	.set _ZL19rocblas_axpy_kernelIiLi256EfPKfPKS1_PKPfEviT2_lT3_lT_lT4_lS9_li.has_dyn_sized_stack, 0
	.set _ZL19rocblas_axpy_kernelIiLi256EfPKfPKS1_PKPfEviT2_lT3_lT_lT4_lS9_li.has_recursion, 0
	.set _ZL19rocblas_axpy_kernelIiLi256EfPKfPKS1_PKPfEviT2_lT3_lT_lT4_lS9_li.has_indirect_call, 0
	.section	.AMDGPU.csdata,"",@progbits
; Kernel info:
; codeLenInByte = 420
; TotalNumSgprs: 28
; NumVgprs: 12
; ScratchSize: 0
; MemoryBound: 0
; FloatMode: 240
; IeeeMode: 1
; LDSByteSize: 0 bytes/workgroup (compile time only)
; SGPRBlocks: 0
; VGPRBlocks: 0
; NumSGPRsForWavesPerEU: 28
; NumVGPRsForWavesPerEU: 12
; NamedBarCnt: 0
; Occupancy: 16
; WaveLimiterHint : 1
; COMPUTE_PGM_RSRC2:SCRATCH_EN: 0
; COMPUTE_PGM_RSRC2:USER_SGPR: 2
; COMPUTE_PGM_RSRC2:TRAP_HANDLER: 0
; COMPUTE_PGM_RSRC2:TGID_X_EN: 1
; COMPUTE_PGM_RSRC2:TGID_Y_EN: 0
; COMPUTE_PGM_RSRC2:TGID_Z_EN: 1
; COMPUTE_PGM_RSRC2:TIDIG_COMP_CNT: 0
	.section	.text._ZL19rocblas_axpy_kernelIiLi256EffPKPKfPKPfEviT2_lT3_lT_lT4_lS9_li,"axG",@progbits,_ZL19rocblas_axpy_kernelIiLi256EffPKPKfPKPfEviT2_lT3_lT_lT4_lS9_li,comdat
	.globl	_ZL19rocblas_axpy_kernelIiLi256EffPKPKfPKPfEviT2_lT3_lT_lT4_lS9_li ; -- Begin function _ZL19rocblas_axpy_kernelIiLi256EffPKPKfPKPfEviT2_lT3_lT_lT4_lS9_li
	.p2align	8
	.type	_ZL19rocblas_axpy_kernelIiLi256EffPKPKfPKPfEviT2_lT3_lT_lT4_lS9_li,@function
_ZL19rocblas_axpy_kernelIiLi256EffPKPKfPKPfEviT2_lT3_lT_lT4_lS9_li: ; @_ZL19rocblas_axpy_kernelIiLi256EffPKPKfPKPfEviT2_lT3_lT_lT4_lS9_li
; %bb.0:
	s_load_b32 s12, s[0:1], 0x50
	s_bfe_u32 s2, ttmp6, 0x40014
	s_lshr_b32 s3, ttmp7, 16
	s_add_co_i32 s2, s2, 1
	s_bfe_u32 s5, ttmp6, 0x40008
	s_mul_i32 s4, s3, s2
	s_getreg_b32 s2, hwreg(HW_REG_IB_STS2, 6, 4)
	s_add_co_i32 s5, s5, s4
	s_cmp_eq_u32 s2, 0
	s_cselect_b32 s13, s3, s5
	s_wait_kmcnt 0x0
	s_cmp_ge_u32 s13, s12
	s_cbranch_scc1 .LBB81_5
; %bb.1:
	s_clause 0x1
	s_load_b32 s4, s[0:1], 0x40
	s_load_b32 s6, s[0:1], 0x20
	s_bfe_u32 s3, ttmp6, 0x4000c
	s_and_b32 s5, ttmp6, 15
	s_add_co_i32 s3, s3, 1
	v_mov_b32_e32 v5, 0
	s_mul_i32 s3, ttmp9, s3
	s_delay_alu instid0(SALU_CYCLE_1)
	s_add_co_i32 s8, s5, s3
	s_wait_kmcnt 0x0
	s_ashr_i32 s5, s4, 31
	s_ashr_i32 s7, s6, 31
	s_cmp_eq_u32 s2, 0
	s_load_b64 s[2:3], s[0:1], 0x0
	s_cselect_b32 s8, ttmp9, s8
	s_delay_alu instid0(SALU_CYCLE_1) | instskip(NEXT) | instid1(VALU_DEP_1)
	v_lshl_or_b32 v4, s8, 8, v0
	v_mul_u64_e32 v[0:1], s[6:7], v[4:5]
	v_mul_u64_e32 v[2:3], s[4:5], v[4:5]
	s_clause 0x1
	s_load_b128 s[4:7], s[0:1], 0x10
	s_load_b128 s[8:11], s[0:1], 0x30
	s_wait_kmcnt 0x0
	s_cmp_neq_f32 s3, 0
	s_mov_b32 s0, s2
	s_cselect_b32 s14, -1, 0
	s_ashr_i32 s1, s2, 31
	s_delay_alu instid0(SALU_CYCLE_1)
	v_cmp_gt_i64_e32 vcc_lo, s[0:1], v[4:5]
	s_lshl_b64 s[0:1], s[6:7], 2
	s_lshl_b64 s[6:7], s[10:11], 2
	s_and_b32 s2, s14, vcc_lo
	s_branch .LBB81_3
.LBB81_2:                               ;   in Loop: Header=BB81_3 Depth=1
	s_wait_xcnt 0x0
	s_or_b32 exec_lo, exec_lo, s10
	s_add_co_i32 s13, s13, 0x10000
	s_delay_alu instid0(SALU_CYCLE_1)
	s_cmp_lt_u32 s13, s12
	s_cbranch_scc0 .LBB81_5
.LBB81_3:                               ; =>This Inner Loop Header: Depth=1
	s_and_saveexec_b32 s10, s2
	s_cbranch_execz .LBB81_2
; %bb.4:                                ;   in Loop: Header=BB81_3 Depth=1
	s_load_b64 s[14:15], s[8:9], s13 offset:0x0 scale_offset
	s_load_b64 s[16:17], s[4:5], s13 offset:0x0 scale_offset
	s_wait_kmcnt 0x0
	s_add_nc_u64 s[14:15], s[14:15], s[6:7]
	s_add_nc_u64 s[16:17], s[16:17], s[0:1]
	s_delay_alu instid0(VALU_DEP_2) | instskip(NEXT) | instid1(VALU_DEP_4)
	v_lshl_add_u64 v[4:5], v[2:3], 2, s[14:15]
	v_lshl_add_u64 v[6:7], v[0:1], 2, s[16:17]
	flat_load_b32 v8, v[4:5]
	flat_load_b32 v9, v[6:7]
	s_wait_loadcnt_dscnt 0x0
	v_fmac_f32_e32 v8, s3, v9
	flat_store_b32 v[4:5], v8
	s_branch .LBB81_2
.LBB81_5:
	s_endpgm
	.section	.rodata,"a",@progbits
	.p2align	6, 0x0
	.amdhsa_kernel _ZL19rocblas_axpy_kernelIiLi256EffPKPKfPKPfEviT2_lT3_lT_lT4_lS9_li
		.amdhsa_group_segment_fixed_size 0
		.amdhsa_private_segment_fixed_size 0
		.amdhsa_kernarg_size 84
		.amdhsa_user_sgpr_count 2
		.amdhsa_user_sgpr_dispatch_ptr 0
		.amdhsa_user_sgpr_queue_ptr 0
		.amdhsa_user_sgpr_kernarg_segment_ptr 1
		.amdhsa_user_sgpr_dispatch_id 0
		.amdhsa_user_sgpr_kernarg_preload_length 0
		.amdhsa_user_sgpr_kernarg_preload_offset 0
		.amdhsa_user_sgpr_private_segment_size 0
		.amdhsa_wavefront_size32 1
		.amdhsa_uses_dynamic_stack 0
		.amdhsa_enable_private_segment 0
		.amdhsa_system_sgpr_workgroup_id_x 1
		.amdhsa_system_sgpr_workgroup_id_y 0
		.amdhsa_system_sgpr_workgroup_id_z 1
		.amdhsa_system_sgpr_workgroup_info 0
		.amdhsa_system_vgpr_workitem_id 0
		.amdhsa_next_free_vgpr 10
		.amdhsa_next_free_sgpr 18
		.amdhsa_named_barrier_count 0
		.amdhsa_reserve_vcc 1
		.amdhsa_float_round_mode_32 0
		.amdhsa_float_round_mode_16_64 0
		.amdhsa_float_denorm_mode_32 3
		.amdhsa_float_denorm_mode_16_64 3
		.amdhsa_fp16_overflow 0
		.amdhsa_memory_ordered 1
		.amdhsa_forward_progress 1
		.amdhsa_inst_pref_size 3
		.amdhsa_round_robin_scheduling 0
		.amdhsa_exception_fp_ieee_invalid_op 0
		.amdhsa_exception_fp_denorm_src 0
		.amdhsa_exception_fp_ieee_div_zero 0
		.amdhsa_exception_fp_ieee_overflow 0
		.amdhsa_exception_fp_ieee_underflow 0
		.amdhsa_exception_fp_ieee_inexact 0
		.amdhsa_exception_int_div_zero 0
	.end_amdhsa_kernel
	.section	.text._ZL19rocblas_axpy_kernelIiLi256EffPKPKfPKPfEviT2_lT3_lT_lT4_lS9_li,"axG",@progbits,_ZL19rocblas_axpy_kernelIiLi256EffPKPKfPKPfEviT2_lT3_lT_lT4_lS9_li,comdat
.Lfunc_end81:
	.size	_ZL19rocblas_axpy_kernelIiLi256EffPKPKfPKPfEviT2_lT3_lT_lT4_lS9_li, .Lfunc_end81-_ZL19rocblas_axpy_kernelIiLi256EffPKPKfPKPfEviT2_lT3_lT_lT4_lS9_li
                                        ; -- End function
	.set _ZL19rocblas_axpy_kernelIiLi256EffPKPKfPKPfEviT2_lT3_lT_lT4_lS9_li.num_vgpr, 10
	.set _ZL19rocblas_axpy_kernelIiLi256EffPKPKfPKPfEviT2_lT3_lT_lT4_lS9_li.num_agpr, 0
	.set _ZL19rocblas_axpy_kernelIiLi256EffPKPKfPKPfEviT2_lT3_lT_lT4_lS9_li.numbered_sgpr, 18
	.set _ZL19rocblas_axpy_kernelIiLi256EffPKPKfPKPfEviT2_lT3_lT_lT4_lS9_li.num_named_barrier, 0
	.set _ZL19rocblas_axpy_kernelIiLi256EffPKPKfPKPfEviT2_lT3_lT_lT4_lS9_li.private_seg_size, 0
	.set _ZL19rocblas_axpy_kernelIiLi256EffPKPKfPKPfEviT2_lT3_lT_lT4_lS9_li.uses_vcc, 1
	.set _ZL19rocblas_axpy_kernelIiLi256EffPKPKfPKPfEviT2_lT3_lT_lT4_lS9_li.uses_flat_scratch, 0
	.set _ZL19rocblas_axpy_kernelIiLi256EffPKPKfPKPfEviT2_lT3_lT_lT4_lS9_li.has_dyn_sized_stack, 0
	.set _ZL19rocblas_axpy_kernelIiLi256EffPKPKfPKPfEviT2_lT3_lT_lT4_lS9_li.has_recursion, 0
	.set _ZL19rocblas_axpy_kernelIiLi256EffPKPKfPKPfEviT2_lT3_lT_lT4_lS9_li.has_indirect_call, 0
	.section	.AMDGPU.csdata,"",@progbits
; Kernel info:
; codeLenInByte = 364
; TotalNumSgprs: 20
; NumVgprs: 10
; ScratchSize: 0
; MemoryBound: 0
; FloatMode: 240
; IeeeMode: 1
; LDSByteSize: 0 bytes/workgroup (compile time only)
; SGPRBlocks: 0
; VGPRBlocks: 0
; NumSGPRsForWavesPerEU: 20
; NumVGPRsForWavesPerEU: 10
; NamedBarCnt: 0
; Occupancy: 16
; WaveLimiterHint : 1
; COMPUTE_PGM_RSRC2:SCRATCH_EN: 0
; COMPUTE_PGM_RSRC2:USER_SGPR: 2
; COMPUTE_PGM_RSRC2:TRAP_HANDLER: 0
; COMPUTE_PGM_RSRC2:TGID_X_EN: 1
; COMPUTE_PGM_RSRC2:TGID_Y_EN: 0
; COMPUTE_PGM_RSRC2:TGID_Z_EN: 1
; COMPUTE_PGM_RSRC2:TIDIG_COMP_CNT: 0
	.section	.text._ZL19rocblas_axpy_kernelIlLi256EfPKfPKS1_PKPfEviT2_lT3_lT_lT4_lS9_li,"axG",@progbits,_ZL19rocblas_axpy_kernelIlLi256EfPKfPKS1_PKPfEviT2_lT3_lT_lT4_lS9_li,comdat
	.globl	_ZL19rocblas_axpy_kernelIlLi256EfPKfPKS1_PKPfEviT2_lT3_lT_lT4_lS9_li ; -- Begin function _ZL19rocblas_axpy_kernelIlLi256EfPKfPKS1_PKPfEviT2_lT3_lT_lT4_lS9_li
	.p2align	8
	.type	_ZL19rocblas_axpy_kernelIlLi256EfPKfPKS1_PKPfEviT2_lT3_lT_lT4_lS9_li,@function
_ZL19rocblas_axpy_kernelIlLi256EfPKfPKS1_PKPfEviT2_lT3_lT_lT4_lS9_li: ; @_ZL19rocblas_axpy_kernelIlLi256EfPKfPKS1_PKPfEviT2_lT3_lT_lT4_lS9_li
; %bb.0:
	s_load_b32 s14, s[0:1], 0x58
	s_bfe_u32 s2, ttmp6, 0x40014
	s_lshr_b32 s3, ttmp7, 16
	s_add_co_i32 s2, s2, 1
	s_bfe_u32 s4, ttmp6, 0x40008
	s_mul_i32 s2, s3, s2
	s_getreg_b32 s8, hwreg(HW_REG_IB_STS2, 6, 4)
	s_add_co_i32 s4, s4, s2
	s_cmp_eq_u32 s8, 0
	s_cselect_b32 s2, s3, s4
	s_mov_b32 s3, 0
	s_wait_kmcnt 0x0
	s_cmp_ge_u32 s2, s14
	s_cbranch_scc1 .LBB82_5
; %bb.1:
	s_clause 0x2
	s_load_b32 s12, s[0:1], 0x0
	s_load_b128 s[16:19], s[0:1], 0x20
	s_load_b128 s[20:23], s[0:1], 0x40
	s_bfe_u32 s4, ttmp6, 0x4000c
	s_and_b32 s9, ttmp6, 15
	s_add_co_i32 s4, s4, 1
	v_mov_b32_e32 v1, 0
	s_mul_i32 s10, ttmp9, s4
	s_load_b128 s[4:7], s[0:1], 0x8
	s_add_co_i32 s9, s9, s10
	s_wait_kmcnt 0x0
	s_ashr_i32 s13, s12, 31
	s_cmp_eq_u32 s8, 0
	s_cselect_b32 s8, ttmp9, s9
	s_delay_alu instid0(SALU_CYCLE_1)
	v_lshl_or_b32 v0, s8, 8, v0
	s_clause 0x1
	s_load_b64 s[8:9], s[0:1], 0x18
	s_load_b64 s[10:11], s[0:1], 0x38
	s_wait_xcnt 0x0
	s_lshl_b64 s[0:1], s[16:17], 2
	v_mul_u64_e32 v[2:3], s[18:19], v[0:1]
	v_mul_u64_e32 v[4:5], s[22:23], v[0:1]
	v_cmp_gt_i64_e32 vcc_lo, s[12:13], v[0:1]
	s_lshl_b64 s[12:13], s[20:21], 2
	s_branch .LBB82_3
.LBB82_2:                               ;   in Loop: Header=BB82_3 Depth=1
	s_wait_xcnt 0x0
	s_or_b32 exec_lo, exec_lo, s15
	s_add_co_i32 s2, s2, 0x10000
	s_delay_alu instid0(SALU_CYCLE_1)
	s_cmp_lt_u32 s2, s14
	s_cbranch_scc0 .LBB82_5
.LBB82_3:                               ; =>This Inner Loop Header: Depth=1
	s_mul_u64 s[16:17], s[6:7], s[2:3]
	s_delay_alu instid0(SALU_CYCLE_1) | instskip(NEXT) | instid1(SALU_CYCLE_1)
	s_lshl_b64 s[16:17], s[16:17], 2
	s_add_nc_u64 s[16:17], s[4:5], s[16:17]
	global_load_b32 v0, v1, s[16:17]
	s_wait_loadcnt 0x0
	v_readfirstlane_b32 s15, v0
	s_cmp_neq_f32 s15, 0
	s_cselect_b32 s15, -1, 0
	s_wait_xcnt 0x0
	s_and_b32 s16, vcc_lo, s15
	s_delay_alu instid0(SALU_CYCLE_1)
	s_and_saveexec_b32 s15, s16
	s_cbranch_execz .LBB82_2
; %bb.4:                                ;   in Loop: Header=BB82_3 Depth=1
	s_lshl_b64 s[16:17], s[2:3], 3
	s_wait_kmcnt 0x0
	s_add_nc_u64 s[18:19], s[10:11], s[16:17]
	s_add_nc_u64 s[16:17], s[8:9], s[16:17]
	s_load_b64 s[20:21], s[18:19], 0x0
	s_load_b64 s[22:23], s[16:17], 0x0
	s_wait_kmcnt 0x0
	s_wait_xcnt 0x0
	s_add_nc_u64 s[16:17], s[20:21], s[12:13]
	s_add_nc_u64 s[18:19], s[22:23], s[0:1]
	v_lshl_add_u64 v[6:7], v[4:5], 2, s[16:17]
	v_lshl_add_u64 v[8:9], v[2:3], 2, s[18:19]
	flat_load_b32 v10, v[6:7]
	flat_load_b32 v11, v[8:9]
	s_wait_loadcnt_dscnt 0x0
	v_fmac_f32_e32 v10, v0, v11
	flat_store_b32 v[6:7], v10
	s_branch .LBB82_2
.LBB82_5:
	s_endpgm
	.section	.rodata,"a",@progbits
	.p2align	6, 0x0
	.amdhsa_kernel _ZL19rocblas_axpy_kernelIlLi256EfPKfPKS1_PKPfEviT2_lT3_lT_lT4_lS9_li
		.amdhsa_group_segment_fixed_size 0
		.amdhsa_private_segment_fixed_size 0
		.amdhsa_kernarg_size 92
		.amdhsa_user_sgpr_count 2
		.amdhsa_user_sgpr_dispatch_ptr 0
		.amdhsa_user_sgpr_queue_ptr 0
		.amdhsa_user_sgpr_kernarg_segment_ptr 1
		.amdhsa_user_sgpr_dispatch_id 0
		.amdhsa_user_sgpr_kernarg_preload_length 0
		.amdhsa_user_sgpr_kernarg_preload_offset 0
		.amdhsa_user_sgpr_private_segment_size 0
		.amdhsa_wavefront_size32 1
		.amdhsa_uses_dynamic_stack 0
		.amdhsa_enable_private_segment 0
		.amdhsa_system_sgpr_workgroup_id_x 1
		.amdhsa_system_sgpr_workgroup_id_y 0
		.amdhsa_system_sgpr_workgroup_id_z 1
		.amdhsa_system_sgpr_workgroup_info 0
		.amdhsa_system_vgpr_workitem_id 0
		.amdhsa_next_free_vgpr 12
		.amdhsa_next_free_sgpr 24
		.amdhsa_named_barrier_count 0
		.amdhsa_reserve_vcc 1
		.amdhsa_float_round_mode_32 0
		.amdhsa_float_round_mode_16_64 0
		.amdhsa_float_denorm_mode_32 3
		.amdhsa_float_denorm_mode_16_64 3
		.amdhsa_fp16_overflow 0
		.amdhsa_memory_ordered 1
		.amdhsa_forward_progress 1
		.amdhsa_inst_pref_size 4
		.amdhsa_round_robin_scheduling 0
		.amdhsa_exception_fp_ieee_invalid_op 0
		.amdhsa_exception_fp_denorm_src 0
		.amdhsa_exception_fp_ieee_div_zero 0
		.amdhsa_exception_fp_ieee_overflow 0
		.amdhsa_exception_fp_ieee_underflow 0
		.amdhsa_exception_fp_ieee_inexact 0
		.amdhsa_exception_int_div_zero 0
	.end_amdhsa_kernel
	.section	.text._ZL19rocblas_axpy_kernelIlLi256EfPKfPKS1_PKPfEviT2_lT3_lT_lT4_lS9_li,"axG",@progbits,_ZL19rocblas_axpy_kernelIlLi256EfPKfPKS1_PKPfEviT2_lT3_lT_lT4_lS9_li,comdat
.Lfunc_end82:
	.size	_ZL19rocblas_axpy_kernelIlLi256EfPKfPKS1_PKPfEviT2_lT3_lT_lT4_lS9_li, .Lfunc_end82-_ZL19rocblas_axpy_kernelIlLi256EfPKfPKS1_PKPfEviT2_lT3_lT_lT4_lS9_li
                                        ; -- End function
	.set _ZL19rocblas_axpy_kernelIlLi256EfPKfPKS1_PKPfEviT2_lT3_lT_lT4_lS9_li.num_vgpr, 12
	.set _ZL19rocblas_axpy_kernelIlLi256EfPKfPKS1_PKPfEviT2_lT3_lT_lT4_lS9_li.num_agpr, 0
	.set _ZL19rocblas_axpy_kernelIlLi256EfPKfPKS1_PKPfEviT2_lT3_lT_lT4_lS9_li.numbered_sgpr, 24
	.set _ZL19rocblas_axpy_kernelIlLi256EfPKfPKS1_PKPfEviT2_lT3_lT_lT4_lS9_li.num_named_barrier, 0
	.set _ZL19rocblas_axpy_kernelIlLi256EfPKfPKS1_PKPfEviT2_lT3_lT_lT4_lS9_li.private_seg_size, 0
	.set _ZL19rocblas_axpy_kernelIlLi256EfPKfPKS1_PKPfEviT2_lT3_lT_lT4_lS9_li.uses_vcc, 1
	.set _ZL19rocblas_axpy_kernelIlLi256EfPKfPKS1_PKPfEviT2_lT3_lT_lT4_lS9_li.uses_flat_scratch, 0
	.set _ZL19rocblas_axpy_kernelIlLi256EfPKfPKS1_PKPfEviT2_lT3_lT_lT4_lS9_li.has_dyn_sized_stack, 0
	.set _ZL19rocblas_axpy_kernelIlLi256EfPKfPKS1_PKPfEviT2_lT3_lT_lT4_lS9_li.has_recursion, 0
	.set _ZL19rocblas_axpy_kernelIlLi256EfPKfPKS1_PKPfEviT2_lT3_lT_lT4_lS9_li.has_indirect_call, 0
	.section	.AMDGPU.csdata,"",@progbits
; Kernel info:
; codeLenInByte = 416
; TotalNumSgprs: 26
; NumVgprs: 12
; ScratchSize: 0
; MemoryBound: 0
; FloatMode: 240
; IeeeMode: 1
; LDSByteSize: 0 bytes/workgroup (compile time only)
; SGPRBlocks: 0
; VGPRBlocks: 0
; NumSGPRsForWavesPerEU: 26
; NumVGPRsForWavesPerEU: 12
; NamedBarCnt: 0
; Occupancy: 16
; WaveLimiterHint : 1
; COMPUTE_PGM_RSRC2:SCRATCH_EN: 0
; COMPUTE_PGM_RSRC2:USER_SGPR: 2
; COMPUTE_PGM_RSRC2:TRAP_HANDLER: 0
; COMPUTE_PGM_RSRC2:TGID_X_EN: 1
; COMPUTE_PGM_RSRC2:TGID_Y_EN: 0
; COMPUTE_PGM_RSRC2:TGID_Z_EN: 1
; COMPUTE_PGM_RSRC2:TIDIG_COMP_CNT: 0
	.section	.text._ZL19rocblas_axpy_kernelIlLi256EffPKPKfPKPfEviT2_lT3_lT_lT4_lS9_li,"axG",@progbits,_ZL19rocblas_axpy_kernelIlLi256EffPKPKfPKPfEviT2_lT3_lT_lT4_lS9_li,comdat
	.globl	_ZL19rocblas_axpy_kernelIlLi256EffPKPKfPKPfEviT2_lT3_lT_lT4_lS9_li ; -- Begin function _ZL19rocblas_axpy_kernelIlLi256EffPKPKfPKPfEviT2_lT3_lT_lT4_lS9_li
	.p2align	8
	.type	_ZL19rocblas_axpy_kernelIlLi256EffPKPKfPKPfEviT2_lT3_lT_lT4_lS9_li,@function
_ZL19rocblas_axpy_kernelIlLi256EffPKPKfPKPfEviT2_lT3_lT_lT4_lS9_li: ; @_ZL19rocblas_axpy_kernelIlLi256EffPKPKfPKPfEviT2_lT3_lT_lT4_lS9_li
; %bb.0:
	s_load_b32 s10, s[0:1], 0x50
	s_bfe_u32 s2, ttmp6, 0x40014
	s_lshr_b32 s3, ttmp7, 16
	s_add_co_i32 s2, s2, 1
	s_bfe_u32 s5, ttmp6, 0x40008
	s_mul_i32 s4, s3, s2
	s_getreg_b32 s2, hwreg(HW_REG_IB_STS2, 6, 4)
	s_add_co_i32 s5, s5, s4
	s_cmp_eq_u32 s2, 0
	s_cselect_b32 s11, s3, s5
	s_wait_kmcnt 0x0
	s_cmp_ge_u32 s11, s10
	s_cbranch_scc1 .LBB83_5
; %bb.1:
	s_clause 0x1
	s_load_b128 s[12:15], s[0:1], 0x18
	s_load_b128 s[16:19], s[0:1], 0x38
	s_bfe_u32 s3, ttmp6, 0x4000c
	s_and_b32 s4, ttmp6, 15
	s_add_co_i32 s3, s3, 1
	v_mov_b32_e32 v5, 0
	s_mul_i32 s3, ttmp9, s3
	s_delay_alu instid0(SALU_CYCLE_1) | instskip(SKIP_3) | instid1(SALU_CYCLE_1)
	s_add_co_i32 s4, s4, s3
	s_cmp_eq_u32 s2, 0
	s_load_b64 s[2:3], s[0:1], 0x0
	s_cselect_b32 s4, ttmp9, s4
	v_lshl_or_b32 v4, s4, 8, v0
	s_clause 0x1
	s_load_b64 s[4:5], s[0:1], 0x10
	s_load_b64 s[6:7], s[0:1], 0x30
	s_wait_kmcnt 0x0
	v_mul_u64_e32 v[0:1], s[14:15], v[4:5]
	v_mul_u64_e32 v[2:3], s[18:19], v[4:5]
	s_cmp_neq_f32 s3, 0
	s_mov_b32 s0, s2
	s_cselect_b32 s8, -1, 0
	s_ashr_i32 s1, s2, 31
	s_delay_alu instid0(SALU_CYCLE_1)
	v_cmp_gt_i64_e32 vcc_lo, s[0:1], v[4:5]
	s_lshl_b64 s[0:1], s[12:13], 2
	s_and_b32 s2, s8, vcc_lo
	s_lshl_b64 s[8:9], s[16:17], 2
	s_branch .LBB83_3
.LBB83_2:                               ;   in Loop: Header=BB83_3 Depth=1
	s_wait_xcnt 0x0
	s_or_b32 exec_lo, exec_lo, s12
	s_add_co_i32 s11, s11, 0x10000
	s_delay_alu instid0(SALU_CYCLE_1)
	s_cmp_lt_u32 s11, s10
	s_cbranch_scc0 .LBB83_5
.LBB83_3:                               ; =>This Inner Loop Header: Depth=1
	s_and_saveexec_b32 s12, s2
	s_cbranch_execz .LBB83_2
; %bb.4:                                ;   in Loop: Header=BB83_3 Depth=1
	s_load_b64 s[14:15], s[6:7], s11 offset:0x0 scale_offset
	s_load_b64 s[16:17], s[4:5], s11 offset:0x0 scale_offset
	s_wait_kmcnt 0x0
	s_add_nc_u64 s[14:15], s[14:15], s[8:9]
	s_add_nc_u64 s[16:17], s[16:17], s[0:1]
	s_delay_alu instid0(VALU_DEP_2) | instskip(NEXT) | instid1(VALU_DEP_4)
	v_lshl_add_u64 v[4:5], v[2:3], 2, s[14:15]
	v_lshl_add_u64 v[6:7], v[0:1], 2, s[16:17]
	flat_load_b32 v8, v[4:5]
	flat_load_b32 v9, v[6:7]
	s_wait_loadcnt_dscnt 0x0
	v_fmac_f32_e32 v8, s3, v9
	flat_store_b32 v[4:5], v8
	s_branch .LBB83_2
.LBB83_5:
	s_endpgm
	.section	.rodata,"a",@progbits
	.p2align	6, 0x0
	.amdhsa_kernel _ZL19rocblas_axpy_kernelIlLi256EffPKPKfPKPfEviT2_lT3_lT_lT4_lS9_li
		.amdhsa_group_segment_fixed_size 0
		.amdhsa_private_segment_fixed_size 0
		.amdhsa_kernarg_size 84
		.amdhsa_user_sgpr_count 2
		.amdhsa_user_sgpr_dispatch_ptr 0
		.amdhsa_user_sgpr_queue_ptr 0
		.amdhsa_user_sgpr_kernarg_segment_ptr 1
		.amdhsa_user_sgpr_dispatch_id 0
		.amdhsa_user_sgpr_kernarg_preload_length 0
		.amdhsa_user_sgpr_kernarg_preload_offset 0
		.amdhsa_user_sgpr_private_segment_size 0
		.amdhsa_wavefront_size32 1
		.amdhsa_uses_dynamic_stack 0
		.amdhsa_enable_private_segment 0
		.amdhsa_system_sgpr_workgroup_id_x 1
		.amdhsa_system_sgpr_workgroup_id_y 0
		.amdhsa_system_sgpr_workgroup_id_z 1
		.amdhsa_system_sgpr_workgroup_info 0
		.amdhsa_system_vgpr_workitem_id 0
		.amdhsa_next_free_vgpr 10
		.amdhsa_next_free_sgpr 20
		.amdhsa_named_barrier_count 0
		.amdhsa_reserve_vcc 1
		.amdhsa_float_round_mode_32 0
		.amdhsa_float_round_mode_16_64 0
		.amdhsa_float_denorm_mode_32 3
		.amdhsa_float_denorm_mode_16_64 3
		.amdhsa_fp16_overflow 0
		.amdhsa_memory_ordered 1
		.amdhsa_forward_progress 1
		.amdhsa_inst_pref_size 3
		.amdhsa_round_robin_scheduling 0
		.amdhsa_exception_fp_ieee_invalid_op 0
		.amdhsa_exception_fp_denorm_src 0
		.amdhsa_exception_fp_ieee_div_zero 0
		.amdhsa_exception_fp_ieee_overflow 0
		.amdhsa_exception_fp_ieee_underflow 0
		.amdhsa_exception_fp_ieee_inexact 0
		.amdhsa_exception_int_div_zero 0
	.end_amdhsa_kernel
	.section	.text._ZL19rocblas_axpy_kernelIlLi256EffPKPKfPKPfEviT2_lT3_lT_lT4_lS9_li,"axG",@progbits,_ZL19rocblas_axpy_kernelIlLi256EffPKPKfPKPfEviT2_lT3_lT_lT4_lS9_li,comdat
.Lfunc_end83:
	.size	_ZL19rocblas_axpy_kernelIlLi256EffPKPKfPKPfEviT2_lT3_lT_lT4_lS9_li, .Lfunc_end83-_ZL19rocblas_axpy_kernelIlLi256EffPKPKfPKPfEviT2_lT3_lT_lT4_lS9_li
                                        ; -- End function
	.set _ZL19rocblas_axpy_kernelIlLi256EffPKPKfPKPfEviT2_lT3_lT_lT4_lS9_li.num_vgpr, 10
	.set _ZL19rocblas_axpy_kernelIlLi256EffPKPKfPKPfEviT2_lT3_lT_lT4_lS9_li.num_agpr, 0
	.set _ZL19rocblas_axpy_kernelIlLi256EffPKPKfPKPfEviT2_lT3_lT_lT4_lS9_li.numbered_sgpr, 20
	.set _ZL19rocblas_axpy_kernelIlLi256EffPKPKfPKPfEviT2_lT3_lT_lT4_lS9_li.num_named_barrier, 0
	.set _ZL19rocblas_axpy_kernelIlLi256EffPKPKfPKPfEviT2_lT3_lT_lT4_lS9_li.private_seg_size, 0
	.set _ZL19rocblas_axpy_kernelIlLi256EffPKPKfPKPfEviT2_lT3_lT_lT4_lS9_li.uses_vcc, 1
	.set _ZL19rocblas_axpy_kernelIlLi256EffPKPKfPKPfEviT2_lT3_lT_lT4_lS9_li.uses_flat_scratch, 0
	.set _ZL19rocblas_axpy_kernelIlLi256EffPKPKfPKPfEviT2_lT3_lT_lT4_lS9_li.has_dyn_sized_stack, 0
	.set _ZL19rocblas_axpy_kernelIlLi256EffPKPKfPKPfEviT2_lT3_lT_lT4_lS9_li.has_recursion, 0
	.set _ZL19rocblas_axpy_kernelIlLi256EffPKPKfPKPfEviT2_lT3_lT_lT4_lS9_li.has_indirect_call, 0
	.section	.AMDGPU.csdata,"",@progbits
; Kernel info:
; codeLenInByte = 348
; TotalNumSgprs: 22
; NumVgprs: 10
; ScratchSize: 0
; MemoryBound: 0
; FloatMode: 240
; IeeeMode: 1
; LDSByteSize: 0 bytes/workgroup (compile time only)
; SGPRBlocks: 0
; VGPRBlocks: 0
; NumSGPRsForWavesPerEU: 22
; NumVGPRsForWavesPerEU: 10
; NamedBarCnt: 0
; Occupancy: 16
; WaveLimiterHint : 1
; COMPUTE_PGM_RSRC2:SCRATCH_EN: 0
; COMPUTE_PGM_RSRC2:USER_SGPR: 2
; COMPUTE_PGM_RSRC2:TRAP_HANDLER: 0
; COMPUTE_PGM_RSRC2:TGID_X_EN: 1
; COMPUTE_PGM_RSRC2:TGID_Y_EN: 0
; COMPUTE_PGM_RSRC2:TGID_Z_EN: 1
; COMPUTE_PGM_RSRC2:TIDIG_COMP_CNT: 0
	.section	.text._ZL26rocblas_haxpy_mlt_8_kernelILi256EPKDF16_PKPKdPKPdEviT0_lT1_llT2_lli,"axG",@progbits,_ZL26rocblas_haxpy_mlt_8_kernelILi256EPKDF16_PKPKdPKPdEviT0_lT1_llT2_lli,comdat
	.globl	_ZL26rocblas_haxpy_mlt_8_kernelILi256EPKDF16_PKPKdPKPdEviT0_lT1_llT2_lli ; -- Begin function _ZL26rocblas_haxpy_mlt_8_kernelILi256EPKDF16_PKPKdPKPdEviT0_lT1_llT2_lli
	.p2align	8
	.type	_ZL26rocblas_haxpy_mlt_8_kernelILi256EPKDF16_PKPKdPKPdEviT0_lT1_llT2_lli,@function
_ZL26rocblas_haxpy_mlt_8_kernelILi256EPKDF16_PKPKdPKPdEviT0_lT1_llT2_lli: ; @_ZL26rocblas_haxpy_mlt_8_kernelILi256EPKDF16_PKPKdPKPdEviT0_lT1_llT2_lli
; %bb.0:
	s_load_b32 s14, s[0:1], 0x48
	s_bfe_u32 s2, ttmp6, 0x40014
	s_lshr_b32 s3, ttmp7, 16
	s_add_co_i32 s2, s2, 1
	s_bfe_u32 s5, ttmp6, 0x40008
	s_mul_i32 s4, s3, s2
	s_getreg_b32 s2, hwreg(HW_REG_IB_STS2, 6, 4)
	s_add_co_i32 s5, s5, s4
	s_cmp_eq_u32 s2, 0
	s_mov_b32 s13, 0
	s_cselect_b32 s12, s3, s5
	s_wait_kmcnt 0x0
	s_cmp_ge_u32 s12, s14
	s_cbranch_scc1 .LBB84_5
; %bb.1:
	s_load_b32 s16, s[0:1], 0x0
	s_bfe_u32 s3, ttmp6, 0x4000c
	s_and_b32 s15, ttmp6, 15
	s_add_co_i32 s3, s3, 1
	s_load_b256 s[4:11], s[0:1], 0x8
	s_mul_i32 s3, ttmp9, s3
	v_mov_b32_e32 v1, 0
	s_add_co_i32 s15, s15, s3
	s_wait_kmcnt 0x0
	s_ashr_i32 s17, s16, 31
	s_cmp_eq_u32 s2, 0
	s_load_b128 s[0:3], s[0:1], 0x30
	s_cselect_b32 s15, ttmp9, s15
	s_lshl_b64 s[10:11], s[10:11], 3
	v_lshl_or_b32 v0, s15, 8, v0
	s_delay_alu instid0(VALU_DEP_1) | instskip(NEXT) | instid1(VALU_DEP_1)
	v_lshlrev_b64_e32 v[2:3], 3, v[0:1]
	v_cmp_le_i64_e32 vcc_lo, s[16:17], v[2:3]
	v_lshlrev_b64_e32 v[2:3], 3, v[2:3]
	s_wait_kmcnt 0x0
	s_lshl_b64 s[2:3], s[2:3], 3
	s_xor_b32 s15, vcc_lo, -1
	s_branch .LBB84_3
.LBB84_2:                               ;   in Loop: Header=BB84_3 Depth=1
	s_wait_xcnt 0x0
	s_or_b32 exec_lo, exec_lo, s16
	s_add_co_i32 s12, s12, 0x10000
	s_delay_alu instid0(SALU_CYCLE_1)
	s_cmp_lt_u32 s12, s14
	s_cbranch_scc0 .LBB84_5
.LBB84_3:                               ; =>This Inner Loop Header: Depth=1
	s_mul_u64 s[16:17], s[6:7], s[12:13]
	s_delay_alu instid0(SALU_CYCLE_1) | instskip(NEXT) | instid1(SALU_CYCLE_1)
	s_lshl_b64 s[16:17], s[16:17], 1
	s_add_nc_u64 s[16:17], s[4:5], s[16:17]
	global_load_u16 v0, v1, s[16:17]
	s_wait_loadcnt 0x0
	s_wait_xcnt 0x0
	v_readfirstlane_b32 s16, v0
	s_pack_ll_b32_b16 s16, s16, s16
	s_delay_alu instid0(SALU_CYCLE_1) | instskip(NEXT) | instid1(SALU_CYCLE_1)
	s_and_b32 s16, s16, 0x7fff
	s_cmp_lg_u32 s16, 0
	s_cselect_b32 s16, -1, 0
	s_delay_alu instid0(SALU_CYCLE_1) | instskip(NEXT) | instid1(SALU_CYCLE_1)
	s_and_b32 s17, s16, s15
	s_and_saveexec_b32 s16, s17
	s_cbranch_execz .LBB84_2
; %bb.4:                                ;   in Loop: Header=BB84_3 Depth=1
	s_lshl_b64 s[18:19], s[12:13], 3
	s_delay_alu instid0(SALU_CYCLE_1)
	s_add_nc_u64 s[20:21], s[0:1], s[18:19]
	s_add_nc_u64 s[18:19], s[8:9], s[18:19]
	s_clause 0x1
	global_load_b64 v[4:5], v1, s[20:21]
	global_load_b64 v[6:7], v1, s[18:19]
	s_wait_loadcnt 0x1
	v_add_nc_u64_e32 v[4:5], s[2:3], v[4:5]
	s_wait_loadcnt 0x0
	v_add_nc_u64_e32 v[6:7], s[10:11], v[6:7]
	s_delay_alu instid0(VALU_DEP_2) | instskip(NEXT) | instid1(VALU_DEP_2)
	v_add_nc_u64_e32 v[12:13], v[4:5], v[2:3]
	v_add_nc_u64_e32 v[14:15], v[6:7], v[2:3]
	flat_load_b128 v[4:7], v[12:13]
	flat_load_b128 v[8:11], v[14:15]
	s_wait_loadcnt_dscnt 0x0
	v_pk_fma_f16 v7, v0, v11, v7 op_sel_hi:[0,1,1]
	v_pk_fma_f16 v6, v0, v10, v6 op_sel_hi:[0,1,1]
	;; [unrolled: 1-line block ×4, first 2 shown]
	flat_store_b128 v[12:13], v[4:7]
	s_branch .LBB84_2
.LBB84_5:
	s_endpgm
	.section	.rodata,"a",@progbits
	.p2align	6, 0x0
	.amdhsa_kernel _ZL26rocblas_haxpy_mlt_8_kernelILi256EPKDF16_PKPKdPKPdEviT0_lT1_llT2_lli
		.amdhsa_group_segment_fixed_size 0
		.amdhsa_private_segment_fixed_size 0
		.amdhsa_kernarg_size 76
		.amdhsa_user_sgpr_count 2
		.amdhsa_user_sgpr_dispatch_ptr 0
		.amdhsa_user_sgpr_queue_ptr 0
		.amdhsa_user_sgpr_kernarg_segment_ptr 1
		.amdhsa_user_sgpr_dispatch_id 0
		.amdhsa_user_sgpr_kernarg_preload_length 0
		.amdhsa_user_sgpr_kernarg_preload_offset 0
		.amdhsa_user_sgpr_private_segment_size 0
		.amdhsa_wavefront_size32 1
		.amdhsa_uses_dynamic_stack 0
		.amdhsa_enable_private_segment 0
		.amdhsa_system_sgpr_workgroup_id_x 1
		.amdhsa_system_sgpr_workgroup_id_y 0
		.amdhsa_system_sgpr_workgroup_id_z 1
		.amdhsa_system_sgpr_workgroup_info 0
		.amdhsa_system_vgpr_workitem_id 0
		.amdhsa_next_free_vgpr 16
		.amdhsa_next_free_sgpr 22
		.amdhsa_named_barrier_count 0
		.amdhsa_reserve_vcc 1
		.amdhsa_float_round_mode_32 0
		.amdhsa_float_round_mode_16_64 0
		.amdhsa_float_denorm_mode_32 3
		.amdhsa_float_denorm_mode_16_64 3
		.amdhsa_fp16_overflow 0
		.amdhsa_memory_ordered 1
		.amdhsa_forward_progress 1
		.amdhsa_inst_pref_size 4
		.amdhsa_round_robin_scheduling 0
		.amdhsa_exception_fp_ieee_invalid_op 0
		.amdhsa_exception_fp_denorm_src 0
		.amdhsa_exception_fp_ieee_div_zero 0
		.amdhsa_exception_fp_ieee_overflow 0
		.amdhsa_exception_fp_ieee_underflow 0
		.amdhsa_exception_fp_ieee_inexact 0
		.amdhsa_exception_int_div_zero 0
	.end_amdhsa_kernel
	.section	.text._ZL26rocblas_haxpy_mlt_8_kernelILi256EPKDF16_PKPKdPKPdEviT0_lT1_llT2_lli,"axG",@progbits,_ZL26rocblas_haxpy_mlt_8_kernelILi256EPKDF16_PKPKdPKPdEviT0_lT1_llT2_lli,comdat
.Lfunc_end84:
	.size	_ZL26rocblas_haxpy_mlt_8_kernelILi256EPKDF16_PKPKdPKPdEviT0_lT1_llT2_lli, .Lfunc_end84-_ZL26rocblas_haxpy_mlt_8_kernelILi256EPKDF16_PKPKdPKPdEviT0_lT1_llT2_lli
                                        ; -- End function
	.set _ZL26rocblas_haxpy_mlt_8_kernelILi256EPKDF16_PKPKdPKPdEviT0_lT1_llT2_lli.num_vgpr, 16
	.set _ZL26rocblas_haxpy_mlt_8_kernelILi256EPKDF16_PKPKdPKPdEviT0_lT1_llT2_lli.num_agpr, 0
	.set _ZL26rocblas_haxpy_mlt_8_kernelILi256EPKDF16_PKPKdPKPdEviT0_lT1_llT2_lli.numbered_sgpr, 22
	.set _ZL26rocblas_haxpy_mlt_8_kernelILi256EPKDF16_PKPKdPKPdEviT0_lT1_llT2_lli.num_named_barrier, 0
	.set _ZL26rocblas_haxpy_mlt_8_kernelILi256EPKDF16_PKPKdPKPdEviT0_lT1_llT2_lli.private_seg_size, 0
	.set _ZL26rocblas_haxpy_mlt_8_kernelILi256EPKDF16_PKPKdPKPdEviT0_lT1_llT2_lli.uses_vcc, 1
	.set _ZL26rocblas_haxpy_mlt_8_kernelILi256EPKDF16_PKPKdPKPdEviT0_lT1_llT2_lli.uses_flat_scratch, 0
	.set _ZL26rocblas_haxpy_mlt_8_kernelILi256EPKDF16_PKPKdPKPdEviT0_lT1_llT2_lli.has_dyn_sized_stack, 0
	.set _ZL26rocblas_haxpy_mlt_8_kernelILi256EPKDF16_PKPKdPKPdEviT0_lT1_llT2_lli.has_recursion, 0
	.set _ZL26rocblas_haxpy_mlt_8_kernelILi256EPKDF16_PKPKdPKPdEviT0_lT1_llT2_lli.has_indirect_call, 0
	.section	.AMDGPU.csdata,"",@progbits
; Kernel info:
; codeLenInByte = 440
; TotalNumSgprs: 24
; NumVgprs: 16
; ScratchSize: 0
; MemoryBound: 1
; FloatMode: 240
; IeeeMode: 1
; LDSByteSize: 0 bytes/workgroup (compile time only)
; SGPRBlocks: 0
; VGPRBlocks: 0
; NumSGPRsForWavesPerEU: 24
; NumVGPRsForWavesPerEU: 16
; NamedBarCnt: 0
; Occupancy: 16
; WaveLimiterHint : 1
; COMPUTE_PGM_RSRC2:SCRATCH_EN: 0
; COMPUTE_PGM_RSRC2:USER_SGPR: 2
; COMPUTE_PGM_RSRC2:TRAP_HANDLER: 0
; COMPUTE_PGM_RSRC2:TGID_X_EN: 1
; COMPUTE_PGM_RSRC2:TGID_Y_EN: 0
; COMPUTE_PGM_RSRC2:TGID_Z_EN: 1
; COMPUTE_PGM_RSRC2:TIDIG_COMP_CNT: 0
	.section	.text._ZL26rocblas_haxpy_mod_8_kernelILi256EPKdPKS1_PKPdEviT0_lT1_llT2_lli,"axG",@progbits,_ZL26rocblas_haxpy_mod_8_kernelILi256EPKdPKS1_PKPdEviT0_lT1_llT2_lli,comdat
	.globl	_ZL26rocblas_haxpy_mod_8_kernelILi256EPKdPKS1_PKPdEviT0_lT1_llT2_lli ; -- Begin function _ZL26rocblas_haxpy_mod_8_kernelILi256EPKdPKS1_PKPdEviT0_lT1_llT2_lli
	.p2align	8
	.type	_ZL26rocblas_haxpy_mod_8_kernelILi256EPKdPKS1_PKPdEviT0_lT1_llT2_lli,@function
_ZL26rocblas_haxpy_mod_8_kernelILi256EPKdPKS1_PKPdEviT0_lT1_llT2_lli: ; @_ZL26rocblas_haxpy_mod_8_kernelILi256EPKdPKS1_PKPdEviT0_lT1_llT2_lli
; %bb.0:
	s_load_b32 s16, s[0:1], 0x48
	s_bfe_u32 s2, ttmp6, 0x40014
	s_lshr_b32 s3, ttmp7, 16
	s_add_co_i32 s2, s2, 1
	s_bfe_u32 s4, ttmp6, 0x40008
	s_mul_i32 s2, s3, s2
	s_getreg_b32 s17, hwreg(HW_REG_IB_STS2, 6, 4)
	s_add_co_i32 s4, s4, s2
	s_cmp_eq_u32 s17, 0
	s_cselect_b32 s2, s3, s4
	s_mov_b32 s3, 0
	s_wait_kmcnt 0x0
	s_cmp_ge_u32 s2, s16
	s_cbranch_scc1 .LBB85_5
; %bb.1:
	s_clause 0x1
	s_load_b32 s18, s[0:1], 0x0
	s_load_b256 s[4:11], s[0:1], 0x8
	s_bfe_u32 s19, ttmp6, 0x4000c
	s_load_b128 s[12:15], s[0:1], 0x30
	s_add_co_i32 s19, s19, 1
	s_wait_xcnt 0x0
	s_and_b32 s0, ttmp6, 15
	s_mul_i32 s1, ttmp9, s19
	v_mov_b32_e32 v1, 0
	s_add_co_i32 s0, s0, s1
	s_wait_kmcnt 0x0
	s_ashr_i32 s19, s18, 31
	s_cmp_eq_u32 s17, 0
	s_cselect_b32 s0, ttmp9, s0
	s_lshl_b64 s[10:11], s[10:11], 3
	v_lshl_or_b32 v0, s0, 8, v0
	s_lshl_b64 s[14:15], s[14:15], 3
	s_delay_alu instid0(VALU_DEP_1)
	v_lshlrev_b64_e32 v[2:3], 3, v[0:1]
	v_cmp_gt_i64_e32 vcc_lo, s[18:19], v[0:1]
	s_branch .LBB85_3
.LBB85_2:                               ;   in Loop: Header=BB85_3 Depth=1
	s_wait_xcnt 0x0
	s_or_b32 exec_lo, exec_lo, s0
	s_add_co_i32 s2, s2, 0x10000
	s_delay_alu instid0(SALU_CYCLE_1)
	s_cmp_lt_u32 s2, s16
	s_cbranch_scc0 .LBB85_5
.LBB85_3:                               ; =>This Inner Loop Header: Depth=1
	s_mul_u64 s[0:1], s[6:7], s[2:3]
	s_delay_alu instid0(SALU_CYCLE_1) | instskip(NEXT) | instid1(SALU_CYCLE_1)
	s_lshl_b64 s[0:1], s[0:1], 3
	s_add_nc_u64 s[0:1], s[4:5], s[0:1]
	global_load_b64 v[4:5], v1, s[0:1]
	s_wait_loadcnt 0x0
	s_wait_xcnt 0x0
	v_cmp_neq_f64_e64 s0, 0, v[4:5]
	s_and_b32 s1, vcc_lo, s0
	s_delay_alu instid0(SALU_CYCLE_1)
	s_and_saveexec_b32 s0, s1
	s_cbranch_execz .LBB85_2
; %bb.4:                                ;   in Loop: Header=BB85_3 Depth=1
	s_lshl_b64 s[18:19], s[2:3], 3
	s_delay_alu instid0(SALU_CYCLE_1)
	s_add_nc_u64 s[20:21], s[8:9], s[18:19]
	s_add_nc_u64 s[18:19], s[12:13], s[18:19]
	s_load_b64 s[22:23], s[20:21], 0x0
	s_load_b64 s[24:25], s[18:19], 0x0
	s_wait_kmcnt 0x0
	s_wait_xcnt 0x0
	s_add_nc_u64 s[18:19], s[22:23], s[10:11]
	s_add_nc_u64 s[20:21], s[24:25], s[14:15]
	v_add_nc_u64_e32 v[6:7], s[18:19], v[2:3]
	v_add_nc_u64_e32 v[8:9], s[20:21], v[2:3]
	flat_load_b64 v[10:11], v[6:7]
	flat_load_b64 v[12:13], v[8:9]
	s_wait_loadcnt_dscnt 0x0
	v_fmac_f64_e32 v[12:13], v[4:5], v[10:11]
	flat_store_b64 v[8:9], v[12:13]
	s_branch .LBB85_2
.LBB85_5:
	s_endpgm
	.section	.rodata,"a",@progbits
	.p2align	6, 0x0
	.amdhsa_kernel _ZL26rocblas_haxpy_mod_8_kernelILi256EPKdPKS1_PKPdEviT0_lT1_llT2_lli
		.amdhsa_group_segment_fixed_size 0
		.amdhsa_private_segment_fixed_size 0
		.amdhsa_kernarg_size 76
		.amdhsa_user_sgpr_count 2
		.amdhsa_user_sgpr_dispatch_ptr 0
		.amdhsa_user_sgpr_queue_ptr 0
		.amdhsa_user_sgpr_kernarg_segment_ptr 1
		.amdhsa_user_sgpr_dispatch_id 0
		.amdhsa_user_sgpr_kernarg_preload_length 0
		.amdhsa_user_sgpr_kernarg_preload_offset 0
		.amdhsa_user_sgpr_private_segment_size 0
		.amdhsa_wavefront_size32 1
		.amdhsa_uses_dynamic_stack 0
		.amdhsa_enable_private_segment 0
		.amdhsa_system_sgpr_workgroup_id_x 1
		.amdhsa_system_sgpr_workgroup_id_y 0
		.amdhsa_system_sgpr_workgroup_id_z 1
		.amdhsa_system_sgpr_workgroup_info 0
		.amdhsa_system_vgpr_workitem_id 0
		.amdhsa_next_free_vgpr 14
		.amdhsa_next_free_sgpr 26
		.amdhsa_named_barrier_count 0
		.amdhsa_reserve_vcc 1
		.amdhsa_float_round_mode_32 0
		.amdhsa_float_round_mode_16_64 0
		.amdhsa_float_denorm_mode_32 3
		.amdhsa_float_denorm_mode_16_64 3
		.amdhsa_fp16_overflow 0
		.amdhsa_memory_ordered 1
		.amdhsa_forward_progress 1
		.amdhsa_inst_pref_size 3
		.amdhsa_round_robin_scheduling 0
		.amdhsa_exception_fp_ieee_invalid_op 0
		.amdhsa_exception_fp_denorm_src 0
		.amdhsa_exception_fp_ieee_div_zero 0
		.amdhsa_exception_fp_ieee_overflow 0
		.amdhsa_exception_fp_ieee_underflow 0
		.amdhsa_exception_fp_ieee_inexact 0
		.amdhsa_exception_int_div_zero 0
	.end_amdhsa_kernel
	.section	.text._ZL26rocblas_haxpy_mod_8_kernelILi256EPKdPKS1_PKPdEviT0_lT1_llT2_lli,"axG",@progbits,_ZL26rocblas_haxpy_mod_8_kernelILi256EPKdPKS1_PKPdEviT0_lT1_llT2_lli,comdat
.Lfunc_end85:
	.size	_ZL26rocblas_haxpy_mod_8_kernelILi256EPKdPKS1_PKPdEviT0_lT1_llT2_lli, .Lfunc_end85-_ZL26rocblas_haxpy_mod_8_kernelILi256EPKdPKS1_PKPdEviT0_lT1_llT2_lli
                                        ; -- End function
	.set _ZL26rocblas_haxpy_mod_8_kernelILi256EPKdPKS1_PKPdEviT0_lT1_llT2_lli.num_vgpr, 14
	.set _ZL26rocblas_haxpy_mod_8_kernelILi256EPKdPKS1_PKPdEviT0_lT1_llT2_lli.num_agpr, 0
	.set _ZL26rocblas_haxpy_mod_8_kernelILi256EPKdPKS1_PKPdEviT0_lT1_llT2_lli.numbered_sgpr, 26
	.set _ZL26rocblas_haxpy_mod_8_kernelILi256EPKdPKS1_PKPdEviT0_lT1_llT2_lli.num_named_barrier, 0
	.set _ZL26rocblas_haxpy_mod_8_kernelILi256EPKdPKS1_PKPdEviT0_lT1_llT2_lli.private_seg_size, 0
	.set _ZL26rocblas_haxpy_mod_8_kernelILi256EPKdPKS1_PKPdEviT0_lT1_llT2_lli.uses_vcc, 1
	.set _ZL26rocblas_haxpy_mod_8_kernelILi256EPKdPKS1_PKPdEviT0_lT1_llT2_lli.uses_flat_scratch, 0
	.set _ZL26rocblas_haxpy_mod_8_kernelILi256EPKdPKS1_PKPdEviT0_lT1_llT2_lli.has_dyn_sized_stack, 0
	.set _ZL26rocblas_haxpy_mod_8_kernelILi256EPKdPKS1_PKPdEviT0_lT1_llT2_lli.has_recursion, 0
	.set _ZL26rocblas_haxpy_mod_8_kernelILi256EPKdPKS1_PKPdEviT0_lT1_llT2_lli.has_indirect_call, 0
	.section	.AMDGPU.csdata,"",@progbits
; Kernel info:
; codeLenInByte = 372
; TotalNumSgprs: 28
; NumVgprs: 14
; ScratchSize: 0
; MemoryBound: 0
; FloatMode: 240
; IeeeMode: 1
; LDSByteSize: 0 bytes/workgroup (compile time only)
; SGPRBlocks: 0
; VGPRBlocks: 0
; NumSGPRsForWavesPerEU: 28
; NumVGPRsForWavesPerEU: 14
; NamedBarCnt: 0
; Occupancy: 16
; WaveLimiterHint : 1
; COMPUTE_PGM_RSRC2:SCRATCH_EN: 0
; COMPUTE_PGM_RSRC2:USER_SGPR: 2
; COMPUTE_PGM_RSRC2:TRAP_HANDLER: 0
; COMPUTE_PGM_RSRC2:TGID_X_EN: 1
; COMPUTE_PGM_RSRC2:TGID_Y_EN: 0
; COMPUTE_PGM_RSRC2:TGID_Z_EN: 1
; COMPUTE_PGM_RSRC2:TIDIG_COMP_CNT: 0
	.section	.text._ZL26rocblas_haxpy_mlt_8_kernelILi256EDF16_PKPKdPKPdEviT0_lT1_llT2_lli,"axG",@progbits,_ZL26rocblas_haxpy_mlt_8_kernelILi256EDF16_PKPKdPKPdEviT0_lT1_llT2_lli,comdat
	.globl	_ZL26rocblas_haxpy_mlt_8_kernelILi256EDF16_PKPKdPKPdEviT0_lT1_llT2_lli ; -- Begin function _ZL26rocblas_haxpy_mlt_8_kernelILi256EDF16_PKPKdPKPdEviT0_lT1_llT2_lli
	.p2align	8
	.type	_ZL26rocblas_haxpy_mlt_8_kernelILi256EDF16_PKPKdPKPdEviT0_lT1_llT2_lli,@function
_ZL26rocblas_haxpy_mlt_8_kernelILi256EDF16_PKPKdPKPdEviT0_lT1_llT2_lli: ; @_ZL26rocblas_haxpy_mlt_8_kernelILi256EDF16_PKPKdPKPdEviT0_lT1_llT2_lli
; %bb.0:
	s_load_b32 s12, s[0:1], 0x40
	s_bfe_u32 s2, ttmp6, 0x40014
	s_lshr_b32 s3, ttmp7, 16
	s_add_co_i32 s2, s2, 1
	s_bfe_u32 s5, ttmp6, 0x40008
	s_mul_i32 s4, s3, s2
	s_getreg_b32 s2, hwreg(HW_REG_IB_STS2, 6, 4)
	s_add_co_i32 s5, s5, s4
	s_cmp_eq_u32 s2, 0
	s_cselect_b32 s13, s3, s5
	s_wait_kmcnt 0x0
	s_cmp_ge_u32 s13, s12
	s_cbranch_scc1 .LBB86_5
; %bb.1:
	s_load_b64 s[16:17], s[0:1], 0x0
	s_bfe_u32 s3, ttmp6, 0x4000c
	s_and_b32 s4, ttmp6, 15
	s_add_co_i32 s3, s3, 1
	s_load_b128 s[8:11], s[0:1], 0x28
	s_mul_i32 s3, ttmp9, s3
	v_mov_b32_e32 v1, 0
	s_add_co_i32 s3, s4, s3
	s_cmp_eq_u32 s2, 0
	s_load_b128 s[4:7], s[0:1], 0x10
	s_cselect_b32 s2, ttmp9, s3
	s_delay_alu instid0(SALU_CYCLE_1) | instskip(NEXT) | instid1(VALU_DEP_1)
	v_lshl_or_b32 v0, s2, 8, v0
	v_lshlrev_b64_e32 v[0:1], 3, v[0:1]
	s_wait_kmcnt 0x0
	s_pack_ll_b32_b16 s14, s17, s17
	s_delay_alu instid0(SALU_CYCLE_1) | instskip(SKIP_4) | instid1(SALU_CYCLE_1)
	s_and_b32 s0, s14, 0x7fff
	s_mov_b32 s15, s14
	s_cmp_lg_u32 s0, 0
	s_cselect_b32 s2, -1, 0
	s_ashr_i32 s17, s16, 31
	v_cmp_gt_i64_e32 vcc_lo, s[16:17], v[0:1]
	v_lshlrev_b64_e32 v[0:1], 3, v[0:1]
	s_mov_b32 s16, s14
	s_mov_b32 s17, s14
	s_lshl_b64 s[0:1], s[6:7], 3
	s_and_b32 s6, s2, vcc_lo
	s_lshl_b64 s[2:3], s[10:11], 3
	s_branch .LBB86_3
.LBB86_2:                               ;   in Loop: Header=BB86_3 Depth=1
	s_wait_xcnt 0x0
	s_or_b32 exec_lo, exec_lo, s7
	s_add_co_i32 s13, s13, 0x10000
	s_delay_alu instid0(SALU_CYCLE_1)
	s_cmp_lt_u32 s13, s12
	s_cbranch_scc0 .LBB86_5
.LBB86_3:                               ; =>This Inner Loop Header: Depth=1
	s_and_saveexec_b32 s7, s6
	s_cbranch_execz .LBB86_2
; %bb.4:                                ;   in Loop: Header=BB86_3 Depth=1
	v_mov_b32_e32 v6, s13
	s_clause 0x1
	global_load_b64 v[2:3], v6, s[8:9] scale_offset
	global_load_b64 v[4:5], v6, s[4:5] scale_offset
	s_wait_loadcnt 0x1
	v_add_nc_u64_e32 v[2:3], s[2:3], v[2:3]
	s_wait_loadcnt 0x0
	v_add_nc_u64_e32 v[4:5], s[0:1], v[4:5]
	s_delay_alu instid0(VALU_DEP_2) | instskip(NEXT) | instid1(VALU_DEP_2)
	v_add_nc_u64_e32 v[10:11], v[2:3], v[0:1]
	v_add_nc_u64_e32 v[12:13], v[4:5], v[0:1]
	flat_load_b128 v[2:5], v[10:11]
	flat_load_b128 v[6:9], v[12:13]
	s_wait_loadcnt_dscnt 0x0
	v_pk_fma_f16 v5, s17, v9, v5
	v_pk_fma_f16 v4, s16, v8, v4
	;; [unrolled: 1-line block ×4, first 2 shown]
	flat_store_b128 v[10:11], v[2:5]
	s_branch .LBB86_2
.LBB86_5:
	s_endpgm
	.section	.rodata,"a",@progbits
	.p2align	6, 0x0
	.amdhsa_kernel _ZL26rocblas_haxpy_mlt_8_kernelILi256EDF16_PKPKdPKPdEviT0_lT1_llT2_lli
		.amdhsa_group_segment_fixed_size 0
		.amdhsa_private_segment_fixed_size 0
		.amdhsa_kernarg_size 68
		.amdhsa_user_sgpr_count 2
		.amdhsa_user_sgpr_dispatch_ptr 0
		.amdhsa_user_sgpr_queue_ptr 0
		.amdhsa_user_sgpr_kernarg_segment_ptr 1
		.amdhsa_user_sgpr_dispatch_id 0
		.amdhsa_user_sgpr_kernarg_preload_length 0
		.amdhsa_user_sgpr_kernarg_preload_offset 0
		.amdhsa_user_sgpr_private_segment_size 0
		.amdhsa_wavefront_size32 1
		.amdhsa_uses_dynamic_stack 0
		.amdhsa_enable_private_segment 0
		.amdhsa_system_sgpr_workgroup_id_x 1
		.amdhsa_system_sgpr_workgroup_id_y 0
		.amdhsa_system_sgpr_workgroup_id_z 1
		.amdhsa_system_sgpr_workgroup_info 0
		.amdhsa_system_vgpr_workitem_id 0
		.amdhsa_next_free_vgpr 14
		.amdhsa_next_free_sgpr 18
		.amdhsa_named_barrier_count 0
		.amdhsa_reserve_vcc 1
		.amdhsa_float_round_mode_32 0
		.amdhsa_float_round_mode_16_64 0
		.amdhsa_float_denorm_mode_32 3
		.amdhsa_float_denorm_mode_16_64 3
		.amdhsa_fp16_overflow 0
		.amdhsa_memory_ordered 1
		.amdhsa_forward_progress 1
		.amdhsa_inst_pref_size 3
		.amdhsa_round_robin_scheduling 0
		.amdhsa_exception_fp_ieee_invalid_op 0
		.amdhsa_exception_fp_denorm_src 0
		.amdhsa_exception_fp_ieee_div_zero 0
		.amdhsa_exception_fp_ieee_overflow 0
		.amdhsa_exception_fp_ieee_underflow 0
		.amdhsa_exception_fp_ieee_inexact 0
		.amdhsa_exception_int_div_zero 0
	.end_amdhsa_kernel
	.section	.text._ZL26rocblas_haxpy_mlt_8_kernelILi256EDF16_PKPKdPKPdEviT0_lT1_llT2_lli,"axG",@progbits,_ZL26rocblas_haxpy_mlt_8_kernelILi256EDF16_PKPKdPKPdEviT0_lT1_llT2_lli,comdat
.Lfunc_end86:
	.size	_ZL26rocblas_haxpy_mlt_8_kernelILi256EDF16_PKPKdPKPdEviT0_lT1_llT2_lli, .Lfunc_end86-_ZL26rocblas_haxpy_mlt_8_kernelILi256EDF16_PKPKdPKPdEviT0_lT1_llT2_lli
                                        ; -- End function
	.set _ZL26rocblas_haxpy_mlt_8_kernelILi256EDF16_PKPKdPKPdEviT0_lT1_llT2_lli.num_vgpr, 14
	.set _ZL26rocblas_haxpy_mlt_8_kernelILi256EDF16_PKPKdPKPdEviT0_lT1_llT2_lli.num_agpr, 0
	.set _ZL26rocblas_haxpy_mlt_8_kernelILi256EDF16_PKPKdPKPdEviT0_lT1_llT2_lli.numbered_sgpr, 18
	.set _ZL26rocblas_haxpy_mlt_8_kernelILi256EDF16_PKPKdPKPdEviT0_lT1_llT2_lli.num_named_barrier, 0
	.set _ZL26rocblas_haxpy_mlt_8_kernelILi256EDF16_PKPKdPKPdEviT0_lT1_llT2_lli.private_seg_size, 0
	.set _ZL26rocblas_haxpy_mlt_8_kernelILi256EDF16_PKPKdPKPdEviT0_lT1_llT2_lli.uses_vcc, 1
	.set _ZL26rocblas_haxpy_mlt_8_kernelILi256EDF16_PKPKdPKPdEviT0_lT1_llT2_lli.uses_flat_scratch, 0
	.set _ZL26rocblas_haxpy_mlt_8_kernelILi256EDF16_PKPKdPKPdEviT0_lT1_llT2_lli.has_dyn_sized_stack, 0
	.set _ZL26rocblas_haxpy_mlt_8_kernelILi256EDF16_PKPKdPKPdEviT0_lT1_llT2_lli.has_recursion, 0
	.set _ZL26rocblas_haxpy_mlt_8_kernelILi256EDF16_PKPKdPKPdEviT0_lT1_llT2_lli.has_indirect_call, 0
	.section	.AMDGPU.csdata,"",@progbits
; Kernel info:
; codeLenInByte = 384
; TotalNumSgprs: 20
; NumVgprs: 14
; ScratchSize: 0
; MemoryBound: 1
; FloatMode: 240
; IeeeMode: 1
; LDSByteSize: 0 bytes/workgroup (compile time only)
; SGPRBlocks: 0
; VGPRBlocks: 0
; NumSGPRsForWavesPerEU: 20
; NumVGPRsForWavesPerEU: 14
; NamedBarCnt: 0
; Occupancy: 16
; WaveLimiterHint : 1
; COMPUTE_PGM_RSRC2:SCRATCH_EN: 0
; COMPUTE_PGM_RSRC2:USER_SGPR: 2
; COMPUTE_PGM_RSRC2:TRAP_HANDLER: 0
; COMPUTE_PGM_RSRC2:TGID_X_EN: 1
; COMPUTE_PGM_RSRC2:TGID_Y_EN: 0
; COMPUTE_PGM_RSRC2:TGID_Z_EN: 1
; COMPUTE_PGM_RSRC2:TIDIG_COMP_CNT: 0
	.section	.text._ZL26rocblas_haxpy_mod_8_kernelILi256EdPKPKdPKPdEviT0_lT1_llT2_lli,"axG",@progbits,_ZL26rocblas_haxpy_mod_8_kernelILi256EdPKPKdPKPdEviT0_lT1_llT2_lli,comdat
	.globl	_ZL26rocblas_haxpy_mod_8_kernelILi256EdPKPKdPKPdEviT0_lT1_llT2_lli ; -- Begin function _ZL26rocblas_haxpy_mod_8_kernelILi256EdPKPKdPKPdEviT0_lT1_llT2_lli
	.p2align	8
	.type	_ZL26rocblas_haxpy_mod_8_kernelILi256EdPKPKdPKPdEviT0_lT1_llT2_lli,@function
_ZL26rocblas_haxpy_mod_8_kernelILi256EdPKPKdPKPdEviT0_lT1_llT2_lli: ; @_ZL26rocblas_haxpy_mod_8_kernelILi256EdPKPKdPKPdEviT0_lT1_llT2_lli
; %bb.0:
	s_load_b32 s10, s[0:1], 0x48
	s_bfe_u32 s2, ttmp6, 0x40014
	s_lshr_b32 s3, ttmp7, 16
	s_add_co_i32 s2, s2, 1
	s_bfe_u32 s4, ttmp6, 0x40008
	s_mul_i32 s2, s3, s2
	s_getreg_b32 s12, hwreg(HW_REG_IB_STS2, 6, 4)
	s_add_co_i32 s4, s4, s2
	s_cmp_eq_u32 s12, 0
	s_cselect_b32 s11, s3, s4
	s_wait_kmcnt 0x0
	s_cmp_ge_u32 s11, s10
	s_cbranch_scc1 .LBB87_5
; %bb.1:
	s_clause 0x1
	s_load_b64 s[8:9], s[0:1], 0x8
	s_load_b32 s14, s[0:1], 0x0
	s_bfe_u32 s2, ttmp6, 0x4000c
	s_load_b128 s[4:7], s[0:1], 0x18
	s_add_co_i32 s2, s2, 1
	s_and_b32 s15, ttmp6, 15
	s_mul_i32 s16, ttmp9, s2
	s_wait_xcnt 0x0
	s_load_b128 s[0:3], s[0:1], 0x30
	s_add_co_i32 s16, s15, s16
	v_mov_b32_e32 v1, 0
	s_wait_kmcnt 0x0
	v_cmp_neq_f64_e64 s13, s[8:9], 0
	s_ashr_i32 s15, s14, 31
	s_cmp_eq_u32 s12, 0
	s_cselect_b32 s12, ttmp9, s16
	s_lshl_b64 s[6:7], s[6:7], 3
	v_lshl_or_b32 v0, s12, 8, v0
	s_lshl_b64 s[2:3], s[2:3], 3
	s_delay_alu instid0(VALU_DEP_1)
	v_cmp_gt_i64_e32 vcc_lo, s[14:15], v[0:1]
	v_lshlrev_b64_e32 v[0:1], 3, v[0:1]
	s_and_b32 s12, s13, vcc_lo
	s_branch .LBB87_3
.LBB87_2:                               ;   in Loop: Header=BB87_3 Depth=1
	s_wait_xcnt 0x0
	s_or_b32 exec_lo, exec_lo, s13
	s_add_co_i32 s11, s11, 0x10000
	s_delay_alu instid0(SALU_CYCLE_1)
	s_cmp_lt_u32 s11, s10
	s_cbranch_scc0 .LBB87_5
.LBB87_3:                               ; =>This Inner Loop Header: Depth=1
	s_and_saveexec_b32 s13, s12
	s_cbranch_execz .LBB87_2
; %bb.4:                                ;   in Loop: Header=BB87_3 Depth=1
	s_load_b64 s[14:15], s[4:5], s11 offset:0x0 scale_offset
	s_load_b64 s[16:17], s[0:1], s11 offset:0x0 scale_offset
	s_wait_kmcnt 0x0
	s_add_nc_u64 s[14:15], s[14:15], s[6:7]
	s_add_nc_u64 s[16:17], s[16:17], s[2:3]
	v_add_nc_u64_e32 v[2:3], s[14:15], v[0:1]
	v_add_nc_u64_e32 v[4:5], s[16:17], v[0:1]
	flat_load_b64 v[6:7], v[2:3]
	flat_load_b64 v[8:9], v[4:5]
	s_wait_loadcnt_dscnt 0x0
	v_fmac_f64_e32 v[8:9], s[8:9], v[6:7]
	flat_store_b64 v[4:5], v[8:9]
	s_branch .LBB87_2
.LBB87_5:
	s_endpgm
	.section	.rodata,"a",@progbits
	.p2align	6, 0x0
	.amdhsa_kernel _ZL26rocblas_haxpy_mod_8_kernelILi256EdPKPKdPKPdEviT0_lT1_llT2_lli
		.amdhsa_group_segment_fixed_size 0
		.amdhsa_private_segment_fixed_size 0
		.amdhsa_kernarg_size 76
		.amdhsa_user_sgpr_count 2
		.amdhsa_user_sgpr_dispatch_ptr 0
		.amdhsa_user_sgpr_queue_ptr 0
		.amdhsa_user_sgpr_kernarg_segment_ptr 1
		.amdhsa_user_sgpr_dispatch_id 0
		.amdhsa_user_sgpr_kernarg_preload_length 0
		.amdhsa_user_sgpr_kernarg_preload_offset 0
		.amdhsa_user_sgpr_private_segment_size 0
		.amdhsa_wavefront_size32 1
		.amdhsa_uses_dynamic_stack 0
		.amdhsa_enable_private_segment 0
		.amdhsa_system_sgpr_workgroup_id_x 1
		.amdhsa_system_sgpr_workgroup_id_y 0
		.amdhsa_system_sgpr_workgroup_id_z 1
		.amdhsa_system_sgpr_workgroup_info 0
		.amdhsa_system_vgpr_workitem_id 0
		.amdhsa_next_free_vgpr 10
		.amdhsa_next_free_sgpr 18
		.amdhsa_named_barrier_count 0
		.amdhsa_reserve_vcc 1
		.amdhsa_float_round_mode_32 0
		.amdhsa_float_round_mode_16_64 0
		.amdhsa_float_denorm_mode_32 3
		.amdhsa_float_denorm_mode_16_64 3
		.amdhsa_fp16_overflow 0
		.amdhsa_memory_ordered 1
		.amdhsa_forward_progress 1
		.amdhsa_inst_pref_size 3
		.amdhsa_round_robin_scheduling 0
		.amdhsa_exception_fp_ieee_invalid_op 0
		.amdhsa_exception_fp_denorm_src 0
		.amdhsa_exception_fp_ieee_div_zero 0
		.amdhsa_exception_fp_ieee_overflow 0
		.amdhsa_exception_fp_ieee_underflow 0
		.amdhsa_exception_fp_ieee_inexact 0
		.amdhsa_exception_int_div_zero 0
	.end_amdhsa_kernel
	.section	.text._ZL26rocblas_haxpy_mod_8_kernelILi256EdPKPKdPKPdEviT0_lT1_llT2_lli,"axG",@progbits,_ZL26rocblas_haxpy_mod_8_kernelILi256EdPKPKdPKPdEviT0_lT1_llT2_lli,comdat
.Lfunc_end87:
	.size	_ZL26rocblas_haxpy_mod_8_kernelILi256EdPKPKdPKPdEviT0_lT1_llT2_lli, .Lfunc_end87-_ZL26rocblas_haxpy_mod_8_kernelILi256EdPKPKdPKPdEviT0_lT1_llT2_lli
                                        ; -- End function
	.set _ZL26rocblas_haxpy_mod_8_kernelILi256EdPKPKdPKPdEviT0_lT1_llT2_lli.num_vgpr, 10
	.set _ZL26rocblas_haxpy_mod_8_kernelILi256EdPKPKdPKPdEviT0_lT1_llT2_lli.num_agpr, 0
	.set _ZL26rocblas_haxpy_mod_8_kernelILi256EdPKPKdPKPdEviT0_lT1_llT2_lli.numbered_sgpr, 18
	.set _ZL26rocblas_haxpy_mod_8_kernelILi256EdPKPKdPKPdEviT0_lT1_llT2_lli.num_named_barrier, 0
	.set _ZL26rocblas_haxpy_mod_8_kernelILi256EdPKPKdPKPdEviT0_lT1_llT2_lli.private_seg_size, 0
	.set _ZL26rocblas_haxpy_mod_8_kernelILi256EdPKPKdPKPdEviT0_lT1_llT2_lli.uses_vcc, 1
	.set _ZL26rocblas_haxpy_mod_8_kernelILi256EdPKPKdPKPdEviT0_lT1_llT2_lli.uses_flat_scratch, 0
	.set _ZL26rocblas_haxpy_mod_8_kernelILi256EdPKPKdPKPdEviT0_lT1_llT2_lli.has_dyn_sized_stack, 0
	.set _ZL26rocblas_haxpy_mod_8_kernelILi256EdPKPKdPKPdEviT0_lT1_llT2_lli.has_recursion, 0
	.set _ZL26rocblas_haxpy_mod_8_kernelILi256EdPKPKdPKPdEviT0_lT1_llT2_lli.has_indirect_call, 0
	.section	.AMDGPU.csdata,"",@progbits
; Kernel info:
; codeLenInByte = 316
; TotalNumSgprs: 20
; NumVgprs: 10
; ScratchSize: 0
; MemoryBound: 0
; FloatMode: 240
; IeeeMode: 1
; LDSByteSize: 0 bytes/workgroup (compile time only)
; SGPRBlocks: 0
; VGPRBlocks: 0
; NumSGPRsForWavesPerEU: 20
; NumVGPRsForWavesPerEU: 10
; NamedBarCnt: 0
; Occupancy: 16
; WaveLimiterHint : 1
; COMPUTE_PGM_RSRC2:SCRATCH_EN: 0
; COMPUTE_PGM_RSRC2:USER_SGPR: 2
; COMPUTE_PGM_RSRC2:TRAP_HANDLER: 0
; COMPUTE_PGM_RSRC2:TGID_X_EN: 1
; COMPUTE_PGM_RSRC2:TGID_Y_EN: 0
; COMPUTE_PGM_RSRC2:TGID_Z_EN: 1
; COMPUTE_PGM_RSRC2:TIDIG_COMP_CNT: 0
	.section	.text._ZL22rocblas_saxpy_2_kernelILi256EdPKdPKS1_PKPdEviT1_lT2_llT3_lli,"axG",@progbits,_ZL22rocblas_saxpy_2_kernelILi256EdPKdPKS1_PKPdEviT1_lT2_llT3_lli,comdat
	.globl	_ZL22rocblas_saxpy_2_kernelILi256EdPKdPKS1_PKPdEviT1_lT2_llT3_lli ; -- Begin function _ZL22rocblas_saxpy_2_kernelILi256EdPKdPKS1_PKPdEviT1_lT2_llT3_lli
	.p2align	8
	.type	_ZL22rocblas_saxpy_2_kernelILi256EdPKdPKS1_PKPdEviT1_lT2_llT3_lli,@function
_ZL22rocblas_saxpy_2_kernelILi256EdPKdPKS1_PKPdEviT1_lT2_llT3_lli: ; @_ZL22rocblas_saxpy_2_kernelILi256EdPKdPKS1_PKPdEviT1_lT2_llT3_lli
; %bb.0:
	s_load_b32 s16, s[0:1], 0x48
	s_bfe_u32 s2, ttmp6, 0x40014
	s_lshr_b32 s3, ttmp7, 16
	s_add_co_i32 s2, s2, 1
	s_bfe_u32 s4, ttmp6, 0x40008
	s_mul_i32 s2, s3, s2
	s_getreg_b32 s17, hwreg(HW_REG_IB_STS2, 6, 4)
	s_add_co_i32 s4, s4, s2
	s_cmp_eq_u32 s17, 0
	s_cselect_b32 s2, s3, s4
	s_mov_b32 s3, 0
	s_wait_kmcnt 0x0
	s_cmp_ge_u32 s2, s16
	s_cbranch_scc1 .LBB88_9
; %bb.1:
	s_clause 0x1
	s_load_b32 s18, s[0:1], 0x0
	s_load_b256 s[4:11], s[0:1], 0x8
	s_bfe_u32 s19, ttmp6, 0x4000c
	s_load_b128 s[12:15], s[0:1], 0x30
	s_add_co_i32 s19, s19, 1
	s_wait_xcnt 0x0
	s_and_b32 s0, ttmp6, 15
	s_mul_i32 s1, ttmp9, s19
	v_dual_mov_b32 v1, 0 :: v_dual_lshlrev_b32 v0, 1, v0
	s_add_co_i32 s0, s0, s1
	s_cmp_eq_u32 s17, 0
	s_cselect_b32 s0, ttmp9, s0
	s_delay_alu instid0(VALU_DEP_1) | instid1(SALU_CYCLE_1)
	v_lshl_or_b32 v0, s0, 9, v0
	s_delay_alu instid0(VALU_DEP_1) | instskip(SKIP_2) | instid1(SALU_CYCLE_1)
	v_lshlrev_b64_e32 v[2:3], 3, v[0:1]
	s_wait_kmcnt 0x0
	s_add_co_i32 s0, s18, -1
	s_ashr_i32 s1, s0, 31
	s_bitcmp1_b32 s18, 0
	v_cmp_eq_u64_e32 vcc_lo, s[0:1], v[0:1]
	v_cmp_gt_i64_e64 s0, s[0:1], v[0:1]
	s_cselect_b32 s1, -1, 0
	s_lshl_b64 s[10:11], s[10:11], 3
	s_lshl_b64 s[14:15], s[14:15], 3
	s_and_b32 s1, s1, vcc_lo
	s_branch .LBB88_4
.LBB88_2:                               ;   in Loop: Header=BB88_4 Depth=1
	s_wait_xcnt 0x0
	s_or_b32 exec_lo, exec_lo, s17
.LBB88_3:                               ;   in Loop: Header=BB88_4 Depth=1
	s_add_co_i32 s2, s2, 0x10000
	s_delay_alu instid0(SALU_CYCLE_1)
	s_cmp_lt_u32 s2, s16
	s_cbranch_scc0 .LBB88_9
.LBB88_4:                               ; =>This Inner Loop Header: Depth=1
	s_wait_xcnt 0x0
	s_mul_u64 s[18:19], s[6:7], s[2:3]
	s_delay_alu instid0(SALU_CYCLE_1) | instskip(NEXT) | instid1(SALU_CYCLE_1)
	s_lshl_b64 s[18:19], s[18:19], 3
	s_add_nc_u64 s[18:19], s[4:5], s[18:19]
	global_load_b64 v[4:5], v1, s[18:19]
	s_wait_loadcnt 0x0
	v_cmp_eq_f64_e32 vcc_lo, 0, v[4:5]
	s_cbranch_vccnz .LBB88_3
; %bb.5:                                ;   in Loop: Header=BB88_4 Depth=1
	s_wait_xcnt 0x0
	s_lshl_b64 s[18:19], s[2:3], 3
	s_delay_alu instid0(SALU_CYCLE_1)
	s_add_nc_u64 s[20:21], s[12:13], s[18:19]
	s_add_nc_u64 s[18:19], s[8:9], s[18:19]
	s_load_b64 s[22:23], s[20:21], 0x0
	s_load_b64 s[24:25], s[18:19], 0x0
	s_wait_kmcnt 0x0
	s_wait_xcnt 0x0
	s_add_nc_u64 s[18:19], s[22:23], s[14:15]
	s_add_nc_u64 s[20:21], s[24:25], s[10:11]
	v_add_nc_u64_e32 v[6:7], s[18:19], v[2:3]
	v_add_nc_u64_e32 v[8:9], s[20:21], v[2:3]
	s_and_saveexec_b32 s17, s0
	s_cbranch_execz .LBB88_7
; %bb.6:                                ;   in Loop: Header=BB88_4 Depth=1
	flat_load_b128 v[10:13], v[6:7]
	flat_load_b64 v[14:15], v[8:9]
	s_wait_loadcnt_dscnt 0x0
	v_fmac_f64_e32 v[10:11], v[4:5], v[14:15]
	flat_store_b64 v[6:7], v[10:11]
	flat_load_b64 v[10:11], v[8:9] offset:8
	s_wait_loadcnt_dscnt 0x0
	v_fmac_f64_e32 v[12:13], v[4:5], v[10:11]
	flat_store_b64 v[6:7], v[12:13] offset:8
.LBB88_7:                               ;   in Loop: Header=BB88_4 Depth=1
	s_wait_xcnt 0x0
	s_or_b32 exec_lo, exec_lo, s17
	s_and_saveexec_b32 s17, s1
	s_cbranch_execz .LBB88_2
; %bb.8:                                ;   in Loop: Header=BB88_4 Depth=1
	flat_load_b64 v[10:11], v[6:7]
	flat_load_b64 v[12:13], v[8:9]
	s_wait_loadcnt_dscnt 0x0
	v_fmac_f64_e32 v[10:11], v[4:5], v[12:13]
	flat_store_b64 v[6:7], v[10:11]
	s_branch .LBB88_2
.LBB88_9:
	s_endpgm
	.section	.rodata,"a",@progbits
	.p2align	6, 0x0
	.amdhsa_kernel _ZL22rocblas_saxpy_2_kernelILi256EdPKdPKS1_PKPdEviT1_lT2_llT3_lli
		.amdhsa_group_segment_fixed_size 0
		.amdhsa_private_segment_fixed_size 0
		.amdhsa_kernarg_size 76
		.amdhsa_user_sgpr_count 2
		.amdhsa_user_sgpr_dispatch_ptr 0
		.amdhsa_user_sgpr_queue_ptr 0
		.amdhsa_user_sgpr_kernarg_segment_ptr 1
		.amdhsa_user_sgpr_dispatch_id 0
		.amdhsa_user_sgpr_kernarg_preload_length 0
		.amdhsa_user_sgpr_kernarg_preload_offset 0
		.amdhsa_user_sgpr_private_segment_size 0
		.amdhsa_wavefront_size32 1
		.amdhsa_uses_dynamic_stack 0
		.amdhsa_enable_private_segment 0
		.amdhsa_system_sgpr_workgroup_id_x 1
		.amdhsa_system_sgpr_workgroup_id_y 0
		.amdhsa_system_sgpr_workgroup_id_z 1
		.amdhsa_system_sgpr_workgroup_info 0
		.amdhsa_system_vgpr_workitem_id 0
		.amdhsa_next_free_vgpr 16
		.amdhsa_next_free_sgpr 26
		.amdhsa_named_barrier_count 0
		.amdhsa_reserve_vcc 1
		.amdhsa_float_round_mode_32 0
		.amdhsa_float_round_mode_16_64 0
		.amdhsa_float_denorm_mode_32 3
		.amdhsa_float_denorm_mode_16_64 3
		.amdhsa_fp16_overflow 0
		.amdhsa_memory_ordered 1
		.amdhsa_forward_progress 1
		.amdhsa_inst_pref_size 4
		.amdhsa_round_robin_scheduling 0
		.amdhsa_exception_fp_ieee_invalid_op 0
		.amdhsa_exception_fp_denorm_src 0
		.amdhsa_exception_fp_ieee_div_zero 0
		.amdhsa_exception_fp_ieee_overflow 0
		.amdhsa_exception_fp_ieee_underflow 0
		.amdhsa_exception_fp_ieee_inexact 0
		.amdhsa_exception_int_div_zero 0
	.end_amdhsa_kernel
	.section	.text._ZL22rocblas_saxpy_2_kernelILi256EdPKdPKS1_PKPdEviT1_lT2_llT3_lli,"axG",@progbits,_ZL22rocblas_saxpy_2_kernelILi256EdPKdPKS1_PKPdEviT1_lT2_llT3_lli,comdat
.Lfunc_end88:
	.size	_ZL22rocblas_saxpy_2_kernelILi256EdPKdPKS1_PKPdEviT1_lT2_llT3_lli, .Lfunc_end88-_ZL22rocblas_saxpy_2_kernelILi256EdPKdPKS1_PKPdEviT1_lT2_llT3_lli
                                        ; -- End function
	.set _ZL22rocblas_saxpy_2_kernelILi256EdPKdPKS1_PKPdEviT1_lT2_llT3_lli.num_vgpr, 16
	.set _ZL22rocblas_saxpy_2_kernelILi256EdPKdPKS1_PKPdEviT1_lT2_llT3_lli.num_agpr, 0
	.set _ZL22rocblas_saxpy_2_kernelILi256EdPKdPKS1_PKPdEviT1_lT2_llT3_lli.numbered_sgpr, 26
	.set _ZL22rocblas_saxpy_2_kernelILi256EdPKdPKS1_PKPdEviT1_lT2_llT3_lli.num_named_barrier, 0
	.set _ZL22rocblas_saxpy_2_kernelILi256EdPKdPKS1_PKPdEviT1_lT2_llT3_lli.private_seg_size, 0
	.set _ZL22rocblas_saxpy_2_kernelILi256EdPKdPKS1_PKPdEviT1_lT2_llT3_lli.uses_vcc, 1
	.set _ZL22rocblas_saxpy_2_kernelILi256EdPKdPKS1_PKPdEviT1_lT2_llT3_lli.uses_flat_scratch, 0
	.set _ZL22rocblas_saxpy_2_kernelILi256EdPKdPKS1_PKPdEviT1_lT2_llT3_lli.has_dyn_sized_stack, 0
	.set _ZL22rocblas_saxpy_2_kernelILi256EdPKdPKS1_PKPdEviT1_lT2_llT3_lli.has_recursion, 0
	.set _ZL22rocblas_saxpy_2_kernelILi256EdPKdPKS1_PKPdEviT1_lT2_llT3_lli.has_indirect_call, 0
	.section	.AMDGPU.csdata,"",@progbits
; Kernel info:
; codeLenInByte = 492
; TotalNumSgprs: 28
; NumVgprs: 16
; ScratchSize: 0
; MemoryBound: 0
; FloatMode: 240
; IeeeMode: 1
; LDSByteSize: 0 bytes/workgroup (compile time only)
; SGPRBlocks: 0
; VGPRBlocks: 0
; NumSGPRsForWavesPerEU: 28
; NumVGPRsForWavesPerEU: 16
; NamedBarCnt: 0
; Occupancy: 16
; WaveLimiterHint : 1
; COMPUTE_PGM_RSRC2:SCRATCH_EN: 0
; COMPUTE_PGM_RSRC2:USER_SGPR: 2
; COMPUTE_PGM_RSRC2:TRAP_HANDLER: 0
; COMPUTE_PGM_RSRC2:TGID_X_EN: 1
; COMPUTE_PGM_RSRC2:TGID_Y_EN: 0
; COMPUTE_PGM_RSRC2:TGID_Z_EN: 1
; COMPUTE_PGM_RSRC2:TIDIG_COMP_CNT: 0
	.section	.text._ZL22rocblas_saxpy_2_kernelILi256EddPKPKdPKPdEviT1_lT2_llT3_lli,"axG",@progbits,_ZL22rocblas_saxpy_2_kernelILi256EddPKPKdPKPdEviT1_lT2_llT3_lli,comdat
	.globl	_ZL22rocblas_saxpy_2_kernelILi256EddPKPKdPKPdEviT1_lT2_llT3_lli ; -- Begin function _ZL22rocblas_saxpy_2_kernelILi256EddPKPKdPKPdEviT1_lT2_llT3_lli
	.p2align	8
	.type	_ZL22rocblas_saxpy_2_kernelILi256EddPKPKdPKPdEviT1_lT2_llT3_lli,@function
_ZL22rocblas_saxpy_2_kernelILi256EddPKPKdPKPdEviT1_lT2_llT3_lli: ; @_ZL22rocblas_saxpy_2_kernelILi256EddPKPKdPKPdEviT1_lT2_llT3_lli
; %bb.0:
	s_load_b32 s12, s[0:1], 0x48
	s_bfe_u32 s2, ttmp6, 0x40014
	s_lshr_b32 s3, ttmp7, 16
	s_add_co_i32 s2, s2, 1
	s_bfe_u32 s4, ttmp6, 0x40008
	s_mul_i32 s2, s3, s2
	s_getreg_b32 s14, hwreg(HW_REG_IB_STS2, 6, 4)
	s_add_co_i32 s4, s4, s2
	s_cmp_eq_u32 s14, 0
	s_cselect_b32 s13, s3, s4
	s_wait_kmcnt 0x0
	s_cmp_ge_u32 s13, s12
	s_cbranch_scc1 .LBB89_9
; %bb.1:
	s_clause 0x1
	s_load_b32 s15, s[0:1], 0x0
	s_load_b64 s[2:3], s[0:1], 0x8
	s_bfe_u32 s16, ttmp6, 0x4000c
	s_clause 0x1
	s_load_b128 s[4:7], s[0:1], 0x18
	s_load_b128 s[8:11], s[0:1], 0x30
	s_add_co_i32 s16, s16, 1
	s_wait_xcnt 0x0
	s_and_b32 s0, ttmp6, 15
	s_mul_i32 s1, ttmp9, s16
	v_dual_mov_b32 v3, 0 :: v_dual_lshlrev_b32 v0, 1, v0
	s_add_co_i32 s0, s0, s1
	s_cmp_eq_u32 s14, 0
	s_cselect_b32 s0, ttmp9, s0
	s_delay_alu instid0(VALU_DEP_1) | instid1(SALU_CYCLE_1)
	v_lshl_or_b32 v2, s0, 9, v0
	s_delay_alu instid0(VALU_DEP_1) | instskip(SKIP_2) | instid1(SALU_CYCLE_1)
	v_lshlrev_b64_e32 v[0:1], 3, v[2:3]
	s_wait_kmcnt 0x0
	s_add_co_i32 s0, s15, -1
	s_ashr_i32 s1, s0, 31
	s_bitcmp1_b32 s15, 0
	v_cmp_eq_u64_e32 vcc_lo, s[0:1], v[2:3]
	v_cmp_gt_i64_e64 s0, s[0:1], v[2:3]
	v_cmp_neq_f64_e64 s1, s[2:3], 0
	s_cselect_b32 s14, -1, 0
	s_lshl_b64 s[6:7], s[6:7], 3
	s_lshl_b64 s[10:11], s[10:11], 3
	s_and_b32 s14, s14, vcc_lo
	s_branch .LBB89_4
.LBB89_2:                               ;   in Loop: Header=BB89_4 Depth=1
	s_wait_xcnt 0x0
	s_or_b32 exec_lo, exec_lo, s15
.LBB89_3:                               ;   in Loop: Header=BB89_4 Depth=1
	s_add_co_i32 s13, s13, 0x10000
	s_delay_alu instid0(SALU_CYCLE_1)
	s_cmp_lt_u32 s13, s12
	s_cbranch_scc0 .LBB89_9
.LBB89_4:                               ; =>This Inner Loop Header: Depth=1
	s_and_not1_b32 vcc_lo, exec_lo, s1
	s_cbranch_vccnz .LBB89_3
; %bb.5:                                ;   in Loop: Header=BB89_4 Depth=1
	s_load_b64 s[16:17], s[8:9], s13 offset:0x0 scale_offset
	s_load_b64 s[18:19], s[4:5], s13 offset:0x0 scale_offset
	s_wait_kmcnt 0x0
	s_add_nc_u64 s[16:17], s[16:17], s[10:11]
	s_add_nc_u64 s[18:19], s[18:19], s[6:7]
	v_add_nc_u64_e32 v[2:3], s[16:17], v[0:1]
	v_add_nc_u64_e32 v[4:5], s[18:19], v[0:1]
	s_and_saveexec_b32 s15, s0
	s_cbranch_execz .LBB89_7
; %bb.6:                                ;   in Loop: Header=BB89_4 Depth=1
	flat_load_b128 v[6:9], v[2:3]
	flat_load_b64 v[10:11], v[4:5]
	s_wait_loadcnt_dscnt 0x0
	v_fmac_f64_e32 v[6:7], s[2:3], v[10:11]
	flat_store_b64 v[2:3], v[6:7]
	flat_load_b64 v[6:7], v[4:5] offset:8
	s_wait_loadcnt_dscnt 0x0
	v_fmac_f64_e32 v[8:9], s[2:3], v[6:7]
	flat_store_b64 v[2:3], v[8:9] offset:8
.LBB89_7:                               ;   in Loop: Header=BB89_4 Depth=1
	s_wait_xcnt 0x0
	s_or_b32 exec_lo, exec_lo, s15
	s_and_saveexec_b32 s15, s14
	s_cbranch_execz .LBB89_2
; %bb.8:                                ;   in Loop: Header=BB89_4 Depth=1
	flat_load_b64 v[6:7], v[2:3]
	flat_load_b64 v[8:9], v[4:5]
	s_wait_loadcnt_dscnt 0x0
	v_fmac_f64_e32 v[6:7], s[2:3], v[8:9]
	flat_store_b64 v[2:3], v[6:7]
	s_branch .LBB89_2
.LBB89_9:
	s_endpgm
	.section	.rodata,"a",@progbits
	.p2align	6, 0x0
	.amdhsa_kernel _ZL22rocblas_saxpy_2_kernelILi256EddPKPKdPKPdEviT1_lT2_llT3_lli
		.amdhsa_group_segment_fixed_size 0
		.amdhsa_private_segment_fixed_size 0
		.amdhsa_kernarg_size 76
		.amdhsa_user_sgpr_count 2
		.amdhsa_user_sgpr_dispatch_ptr 0
		.amdhsa_user_sgpr_queue_ptr 0
		.amdhsa_user_sgpr_kernarg_segment_ptr 1
		.amdhsa_user_sgpr_dispatch_id 0
		.amdhsa_user_sgpr_kernarg_preload_length 0
		.amdhsa_user_sgpr_kernarg_preload_offset 0
		.amdhsa_user_sgpr_private_segment_size 0
		.amdhsa_wavefront_size32 1
		.amdhsa_uses_dynamic_stack 0
		.amdhsa_enable_private_segment 0
		.amdhsa_system_sgpr_workgroup_id_x 1
		.amdhsa_system_sgpr_workgroup_id_y 0
		.amdhsa_system_sgpr_workgroup_id_z 1
		.amdhsa_system_sgpr_workgroup_info 0
		.amdhsa_system_vgpr_workitem_id 0
		.amdhsa_next_free_vgpr 12
		.amdhsa_next_free_sgpr 20
		.amdhsa_named_barrier_count 0
		.amdhsa_reserve_vcc 1
		.amdhsa_float_round_mode_32 0
		.amdhsa_float_round_mode_16_64 0
		.amdhsa_float_denorm_mode_32 3
		.amdhsa_float_denorm_mode_16_64 3
		.amdhsa_fp16_overflow 0
		.amdhsa_memory_ordered 1
		.amdhsa_forward_progress 1
		.amdhsa_inst_pref_size 4
		.amdhsa_round_robin_scheduling 0
		.amdhsa_exception_fp_ieee_invalid_op 0
		.amdhsa_exception_fp_denorm_src 0
		.amdhsa_exception_fp_ieee_div_zero 0
		.amdhsa_exception_fp_ieee_overflow 0
		.amdhsa_exception_fp_ieee_underflow 0
		.amdhsa_exception_fp_ieee_inexact 0
		.amdhsa_exception_int_div_zero 0
	.end_amdhsa_kernel
	.section	.text._ZL22rocblas_saxpy_2_kernelILi256EddPKPKdPKPdEviT1_lT2_llT3_lli,"axG",@progbits,_ZL22rocblas_saxpy_2_kernelILi256EddPKPKdPKPdEviT1_lT2_llT3_lli,comdat
.Lfunc_end89:
	.size	_ZL22rocblas_saxpy_2_kernelILi256EddPKPKdPKPdEviT1_lT2_llT3_lli, .Lfunc_end89-_ZL22rocblas_saxpy_2_kernelILi256EddPKPKdPKPdEviT1_lT2_llT3_lli
                                        ; -- End function
	.set _ZL22rocblas_saxpy_2_kernelILi256EddPKPKdPKPdEviT1_lT2_llT3_lli.num_vgpr, 12
	.set _ZL22rocblas_saxpy_2_kernelILi256EddPKPKdPKPdEviT1_lT2_llT3_lli.num_agpr, 0
	.set _ZL22rocblas_saxpy_2_kernelILi256EddPKPKdPKPdEviT1_lT2_llT3_lli.numbered_sgpr, 20
	.set _ZL22rocblas_saxpy_2_kernelILi256EddPKPKdPKPdEviT1_lT2_llT3_lli.num_named_barrier, 0
	.set _ZL22rocblas_saxpy_2_kernelILi256EddPKPKdPKPdEviT1_lT2_llT3_lli.private_seg_size, 0
	.set _ZL22rocblas_saxpy_2_kernelILi256EddPKPKdPKPdEviT1_lT2_llT3_lli.uses_vcc, 1
	.set _ZL22rocblas_saxpy_2_kernelILi256EddPKPKdPKPdEviT1_lT2_llT3_lli.uses_flat_scratch, 0
	.set _ZL22rocblas_saxpy_2_kernelILi256EddPKPKdPKPdEviT1_lT2_llT3_lli.has_dyn_sized_stack, 0
	.set _ZL22rocblas_saxpy_2_kernelILi256EddPKPKdPKPdEviT1_lT2_llT3_lli.has_recursion, 0
	.set _ZL22rocblas_saxpy_2_kernelILi256EddPKPKdPKPdEviT1_lT2_llT3_lli.has_indirect_call, 0
	.section	.AMDGPU.csdata,"",@progbits
; Kernel info:
; codeLenInByte = 448
; TotalNumSgprs: 22
; NumVgprs: 12
; ScratchSize: 0
; MemoryBound: 0
; FloatMode: 240
; IeeeMode: 1
; LDSByteSize: 0 bytes/workgroup (compile time only)
; SGPRBlocks: 0
; VGPRBlocks: 0
; NumSGPRsForWavesPerEU: 22
; NumVGPRsForWavesPerEU: 12
; NamedBarCnt: 0
; Occupancy: 16
; WaveLimiterHint : 1
; COMPUTE_PGM_RSRC2:SCRATCH_EN: 0
; COMPUTE_PGM_RSRC2:USER_SGPR: 2
; COMPUTE_PGM_RSRC2:TRAP_HANDLER: 0
; COMPUTE_PGM_RSRC2:TGID_X_EN: 1
; COMPUTE_PGM_RSRC2:TGID_Y_EN: 0
; COMPUTE_PGM_RSRC2:TGID_Z_EN: 1
; COMPUTE_PGM_RSRC2:TIDIG_COMP_CNT: 0
	.section	.text._ZL27rocblas_axpy_kernel_batchedIiLi128ELi8EdPKdPKS1_PKPdEviT3_lT4_lT_lT5_lS9_li,"axG",@progbits,_ZL27rocblas_axpy_kernel_batchedIiLi128ELi8EdPKdPKS1_PKPdEviT3_lT4_lT_lT5_lS9_li,comdat
	.globl	_ZL27rocblas_axpy_kernel_batchedIiLi128ELi8EdPKdPKS1_PKPdEviT3_lT4_lT_lT5_lS9_li ; -- Begin function _ZL27rocblas_axpy_kernel_batchedIiLi128ELi8EdPKdPKS1_PKPdEviT3_lT4_lT_lT5_lS9_li
	.p2align	8
	.type	_ZL27rocblas_axpy_kernel_batchedIiLi128ELi8EdPKdPKS1_PKPdEviT3_lT4_lT_lT5_lS9_li,@function
_ZL27rocblas_axpy_kernel_batchedIiLi128ELi8EdPKdPKS1_PKPdEviT3_lT4_lT_lT5_lS9_li: ; @_ZL27rocblas_axpy_kernel_batchedIiLi128ELi8EdPKdPKS1_PKPdEviT3_lT4_lT_lT5_lS9_li
; %bb.0:
	s_load_b32 s4, s[0:1], 0x0
	s_bfe_u32 s2, ttmp6, 0x4000c
	s_and_b32 s5, ttmp6, 15
	s_add_co_i32 s2, s2, 1
	s_getreg_b32 s3, hwreg(HW_REG_IB_STS2, 6, 4)
	s_mul_i32 s2, ttmp9, s2
	v_and_b32_e32 v1, 0x3ff, v0
	s_add_co_i32 s2, s5, s2
	v_mov_b32_e32 v5, 0
	s_wait_kmcnt 0x0
	s_ashr_i32 s5, s4, 31
	s_cmp_eq_u32 s3, 0
	s_cselect_b32 s2, ttmp9, s2
	s_delay_alu instid0(SALU_CYCLE_1) | instskip(SKIP_1) | instid1(VALU_DEP_1)
	v_lshl_add_u32 v4, s2, 7, v1
	s_mov_b32 s2, exec_lo
	v_cmpx_gt_i64_e64 s[4:5], v[4:5]
	s_cbranch_execz .LBB90_15
; %bb.1:
	s_load_b32 s2, s[0:1], 0x58
	s_bfe_u32 s4, ttmp6, 0x40014
	v_lshrrev_b32_e32 v0, 8, v0
	s_lshr_b32 s5, ttmp7, 16
	s_add_co_i32 s4, s4, 1
	s_bfe_u32 s6, ttmp6, 0x40008
	s_mul_i32 s4, s5, s4
	v_and_b32_e32 v0, 0xffc, v0
	s_add_co_i32 s6, s6, s4
	s_cmp_eq_u32 s3, 0
	s_cselect_b32 s3, s5, s6
	s_delay_alu instid0(VALU_DEP_1) | instid1(SALU_CYCLE_1)
	v_lshl_add_u32 v0, s3, 5, v0
	s_wait_kmcnt 0x0
	s_delay_alu instid0(VALU_DEP_1)
	v_cmp_gt_u32_e32 vcc_lo, s2, v0
	s_and_b32 exec_lo, exec_lo, vcc_lo
	s_cbranch_execz .LBB90_15
; %bb.2:
	s_clause 0x3
	s_load_b32 s4, s[0:1], 0x28
	s_load_b32 s6, s[0:1], 0x48
	s_load_b128 s[12:15], s[0:1], 0x38
	s_load_b32 s3, s[0:1], 0x68
	v_mov_b32_e32 v1, 0
	s_wait_kmcnt 0x0
	s_ashr_i32 s5, s4, 31
	s_ashr_i32 s7, s6, 31
	v_mul_u64_e32 v[2:3], s[4:5], v[4:5]
	v_mul_u64_e32 v[4:5], s[6:7], v[4:5]
	s_load_b256 s[4:11], s[0:1], 0x8
	s_wait_xcnt 0x0
	s_lshl_b32 s0, s3, 5
	s_mov_b32 s1, 0
	s_branch .LBB90_4
.LBB90_3:                               ;   in Loop: Header=BB90_4 Depth=1
	s_wait_xcnt 0x0
	s_or_b32 exec_lo, exec_lo, s3
	v_add_nc_u32_e32 v0, s0, v0
	s_delay_alu instid0(VALU_DEP_1) | instskip(SKIP_1) | instid1(SALU_CYCLE_1)
	v_cmp_le_u32_e32 vcc_lo, s2, v0
	s_or_b32 s1, vcc_lo, s1
	s_and_not1_b32 exec_lo, exec_lo, s1
	s_cbranch_execz .LBB90_15
.LBB90_4:                               ; =>This Inner Loop Header: Depth=1
	s_wait_kmcnt 0x0
	v_mul_u64_e32 v[6:7], s[6:7], v[0:1]
	s_mov_b32 s3, exec_lo
	s_delay_alu instid0(VALU_DEP_1)
	v_lshl_add_u64 v[6:7], v[6:7], 3, s[4:5]
	global_load_b64 v[6:7], v[6:7], off
	s_wait_loadcnt 0x0
	s_wait_xcnt 0x0
	v_cmpx_neq_f64_e32 0, v[6:7]
	s_cbranch_execz .LBB90_6
; %bb.5:                                ;   in Loop: Header=BB90_4 Depth=1
	v_lshlrev_b64_e32 v[8:9], 3, v[0:1]
	s_delay_alu instid0(VALU_DEP_1)
	v_add_nc_u64_e32 v[10:11], s[12:13], v[8:9]
	v_add_nc_u64_e32 v[8:9], s[8:9], v[8:9]
	global_load_b64 v[12:13], v[10:11], off
	global_load_b64 v[14:15], v[8:9], off
	s_wait_loadcnt 0x1
	s_wait_xcnt 0x0
	v_lshl_add_u64 v[8:9], s[14:15], 3, v[12:13]
	s_wait_loadcnt 0x0
	v_lshl_add_u64 v[10:11], s[10:11], 3, v[14:15]
	s_delay_alu instid0(VALU_DEP_2) | instskip(NEXT) | instid1(VALU_DEP_2)
	v_lshl_add_u64 v[8:9], v[4:5], 3, v[8:9]
	v_lshl_add_u64 v[10:11], v[2:3], 3, v[10:11]
	flat_load_b64 v[12:13], v[8:9]
	flat_load_b64 v[14:15], v[10:11]
	s_wait_loadcnt_dscnt 0x0
	v_fmac_f64_e32 v[12:13], v[6:7], v[14:15]
	flat_store_b64 v[8:9], v[12:13]
.LBB90_6:                               ;   in Loop: Header=BB90_4 Depth=1
	s_wait_xcnt 0x0
	s_or_b32 exec_lo, exec_lo, s3
	v_add_nc_u32_e32 v6, 1, v0
	s_mov_b32 s3, exec_lo
	s_delay_alu instid0(VALU_DEP_1)
	v_cmpx_gt_u32_e64 s2, v6
	s_cbranch_execz .LBB90_9
; %bb.7:                                ;   in Loop: Header=BB90_4 Depth=1
	v_mov_b32_e32 v7, v1
	s_delay_alu instid0(VALU_DEP_1) | instskip(NEXT) | instid1(VALU_DEP_1)
	v_mul_u64_e32 v[6:7], s[6:7], v[6:7]
	v_lshl_add_u64 v[6:7], v[6:7], 3, s[4:5]
	global_load_b64 v[6:7], v[6:7], off
	s_wait_loadcnt 0x0
	v_cmp_neq_f64_e32 vcc_lo, 0, v[6:7]
	s_wait_xcnt 0x0
	s_and_b32 exec_lo, exec_lo, vcc_lo
	s_cbranch_execz .LBB90_9
; %bb.8:                                ;   in Loop: Header=BB90_4 Depth=1
	v_lshlrev_b64_e32 v[8:9], 3, v[0:1]
	s_delay_alu instid0(VALU_DEP_1)
	v_add_nc_u64_e32 v[10:11], s[12:13], v[8:9]
	v_add_nc_u64_e32 v[8:9], s[8:9], v[8:9]
	global_load_b64 v[12:13], v[10:11], off offset:8
	global_load_b64 v[14:15], v[8:9], off offset:8
	s_wait_loadcnt 0x1
	s_wait_xcnt 0x0
	v_lshl_add_u64 v[8:9], s[14:15], 3, v[12:13]
	s_wait_loadcnt 0x0
	v_lshl_add_u64 v[10:11], s[10:11], 3, v[14:15]
	s_delay_alu instid0(VALU_DEP_2) | instskip(NEXT) | instid1(VALU_DEP_2)
	v_lshl_add_u64 v[8:9], v[4:5], 3, v[8:9]
	v_lshl_add_u64 v[10:11], v[2:3], 3, v[10:11]
	flat_load_b64 v[12:13], v[8:9]
	flat_load_b64 v[14:15], v[10:11]
	s_wait_loadcnt_dscnt 0x0
	v_fmac_f64_e32 v[12:13], v[6:7], v[14:15]
	flat_store_b64 v[8:9], v[12:13]
.LBB90_9:                               ;   in Loop: Header=BB90_4 Depth=1
	s_wait_xcnt 0x0
	s_or_b32 exec_lo, exec_lo, s3
	v_add_nc_u32_e32 v6, 2, v0
	s_mov_b32 s3, exec_lo
	s_delay_alu instid0(VALU_DEP_1)
	v_cmpx_gt_u32_e64 s2, v6
	s_cbranch_execz .LBB90_12
; %bb.10:                               ;   in Loop: Header=BB90_4 Depth=1
	v_mov_b32_e32 v7, v1
	s_delay_alu instid0(VALU_DEP_1) | instskip(NEXT) | instid1(VALU_DEP_1)
	v_mul_u64_e32 v[6:7], s[6:7], v[6:7]
	v_lshl_add_u64 v[6:7], v[6:7], 3, s[4:5]
	global_load_b64 v[6:7], v[6:7], off
	s_wait_loadcnt 0x0
	v_cmp_neq_f64_e32 vcc_lo, 0, v[6:7]
	s_wait_xcnt 0x0
	s_and_b32 exec_lo, exec_lo, vcc_lo
	s_cbranch_execz .LBB90_12
; %bb.11:                               ;   in Loop: Header=BB90_4 Depth=1
	v_lshlrev_b64_e32 v[8:9], 3, v[0:1]
	s_delay_alu instid0(VALU_DEP_1)
	v_add_nc_u64_e32 v[10:11], s[12:13], v[8:9]
	v_add_nc_u64_e32 v[8:9], s[8:9], v[8:9]
	global_load_b64 v[12:13], v[10:11], off offset:16
	global_load_b64 v[14:15], v[8:9], off offset:16
	s_wait_loadcnt 0x1
	s_wait_xcnt 0x0
	v_lshl_add_u64 v[8:9], s[14:15], 3, v[12:13]
	s_wait_loadcnt 0x0
	v_lshl_add_u64 v[10:11], s[10:11], 3, v[14:15]
	s_delay_alu instid0(VALU_DEP_2) | instskip(NEXT) | instid1(VALU_DEP_2)
	v_lshl_add_u64 v[8:9], v[4:5], 3, v[8:9]
	v_lshl_add_u64 v[10:11], v[2:3], 3, v[10:11]
	flat_load_b64 v[12:13], v[8:9]
	flat_load_b64 v[14:15], v[10:11]
	s_wait_loadcnt_dscnt 0x0
	v_fmac_f64_e32 v[12:13], v[6:7], v[14:15]
	flat_store_b64 v[8:9], v[12:13]
.LBB90_12:                              ;   in Loop: Header=BB90_4 Depth=1
	s_wait_xcnt 0x0
	s_or_b32 exec_lo, exec_lo, s3
	v_add_nc_u32_e32 v6, 3, v0
	s_mov_b32 s3, exec_lo
	s_delay_alu instid0(VALU_DEP_1)
	v_cmpx_gt_u32_e64 s2, v6
	s_cbranch_execz .LBB90_3
; %bb.13:                               ;   in Loop: Header=BB90_4 Depth=1
	v_mov_b32_e32 v7, v1
	s_delay_alu instid0(VALU_DEP_1) | instskip(NEXT) | instid1(VALU_DEP_1)
	v_mul_u64_e32 v[6:7], s[6:7], v[6:7]
	v_lshl_add_u64 v[6:7], v[6:7], 3, s[4:5]
	global_load_b64 v[6:7], v[6:7], off
	s_wait_loadcnt 0x0
	v_cmp_neq_f64_e32 vcc_lo, 0, v[6:7]
	s_wait_xcnt 0x0
	s_and_b32 exec_lo, exec_lo, vcc_lo
	s_cbranch_execz .LBB90_3
; %bb.14:                               ;   in Loop: Header=BB90_4 Depth=1
	v_lshlrev_b64_e32 v[8:9], 3, v[0:1]
	s_delay_alu instid0(VALU_DEP_1)
	v_add_nc_u64_e32 v[10:11], s[12:13], v[8:9]
	v_add_nc_u64_e32 v[8:9], s[8:9], v[8:9]
	global_load_b64 v[12:13], v[10:11], off offset:24
	global_load_b64 v[14:15], v[8:9], off offset:24
	s_wait_loadcnt 0x1
	s_wait_xcnt 0x0
	v_lshl_add_u64 v[8:9], s[14:15], 3, v[12:13]
	s_wait_loadcnt 0x0
	v_lshl_add_u64 v[10:11], s[10:11], 3, v[14:15]
	s_delay_alu instid0(VALU_DEP_2) | instskip(NEXT) | instid1(VALU_DEP_2)
	v_lshl_add_u64 v[8:9], v[4:5], 3, v[8:9]
	v_lshl_add_u64 v[10:11], v[2:3], 3, v[10:11]
	flat_load_b64 v[12:13], v[8:9]
	flat_load_b64 v[14:15], v[10:11]
	s_wait_loadcnt_dscnt 0x0
	v_fmac_f64_e32 v[12:13], v[6:7], v[14:15]
	flat_store_b64 v[8:9], v[12:13]
	s_branch .LBB90_3
.LBB90_15:
	s_endpgm
	.section	.rodata,"a",@progbits
	.p2align	6, 0x0
	.amdhsa_kernel _ZL27rocblas_axpy_kernel_batchedIiLi128ELi8EdPKdPKS1_PKPdEviT3_lT4_lT_lT5_lS9_li
		.amdhsa_group_segment_fixed_size 0
		.amdhsa_private_segment_fixed_size 0
		.amdhsa_kernarg_size 352
		.amdhsa_user_sgpr_count 2
		.amdhsa_user_sgpr_dispatch_ptr 0
		.amdhsa_user_sgpr_queue_ptr 0
		.amdhsa_user_sgpr_kernarg_segment_ptr 1
		.amdhsa_user_sgpr_dispatch_id 0
		.amdhsa_user_sgpr_kernarg_preload_length 0
		.amdhsa_user_sgpr_kernarg_preload_offset 0
		.amdhsa_user_sgpr_private_segment_size 0
		.amdhsa_wavefront_size32 1
		.amdhsa_uses_dynamic_stack 0
		.amdhsa_enable_private_segment 0
		.amdhsa_system_sgpr_workgroup_id_x 1
		.amdhsa_system_sgpr_workgroup_id_y 0
		.amdhsa_system_sgpr_workgroup_id_z 1
		.amdhsa_system_sgpr_workgroup_info 0
		.amdhsa_system_vgpr_workitem_id 1
		.amdhsa_next_free_vgpr 16
		.amdhsa_next_free_sgpr 16
		.amdhsa_named_barrier_count 0
		.amdhsa_reserve_vcc 1
		.amdhsa_float_round_mode_32 0
		.amdhsa_float_round_mode_16_64 0
		.amdhsa_float_denorm_mode_32 3
		.amdhsa_float_denorm_mode_16_64 3
		.amdhsa_fp16_overflow 0
		.amdhsa_memory_ordered 1
		.amdhsa_forward_progress 1
		.amdhsa_inst_pref_size 9
		.amdhsa_round_robin_scheduling 0
		.amdhsa_exception_fp_ieee_invalid_op 0
		.amdhsa_exception_fp_denorm_src 0
		.amdhsa_exception_fp_ieee_div_zero 0
		.amdhsa_exception_fp_ieee_overflow 0
		.amdhsa_exception_fp_ieee_underflow 0
		.amdhsa_exception_fp_ieee_inexact 0
		.amdhsa_exception_int_div_zero 0
	.end_amdhsa_kernel
	.section	.text._ZL27rocblas_axpy_kernel_batchedIiLi128ELi8EdPKdPKS1_PKPdEviT3_lT4_lT_lT5_lS9_li,"axG",@progbits,_ZL27rocblas_axpy_kernel_batchedIiLi128ELi8EdPKdPKS1_PKPdEviT3_lT4_lT_lT5_lS9_li,comdat
.Lfunc_end90:
	.size	_ZL27rocblas_axpy_kernel_batchedIiLi128ELi8EdPKdPKS1_PKPdEviT3_lT4_lT_lT5_lS9_li, .Lfunc_end90-_ZL27rocblas_axpy_kernel_batchedIiLi128ELi8EdPKdPKS1_PKPdEviT3_lT4_lT_lT5_lS9_li
                                        ; -- End function
	.set _ZL27rocblas_axpy_kernel_batchedIiLi128ELi8EdPKdPKS1_PKPdEviT3_lT4_lT_lT5_lS9_li.num_vgpr, 16
	.set _ZL27rocblas_axpy_kernel_batchedIiLi128ELi8EdPKdPKS1_PKPdEviT3_lT4_lT_lT5_lS9_li.num_agpr, 0
	.set _ZL27rocblas_axpy_kernel_batchedIiLi128ELi8EdPKdPKS1_PKPdEviT3_lT4_lT_lT5_lS9_li.numbered_sgpr, 16
	.set _ZL27rocblas_axpy_kernel_batchedIiLi128ELi8EdPKdPKS1_PKPdEviT3_lT4_lT_lT5_lS9_li.num_named_barrier, 0
	.set _ZL27rocblas_axpy_kernel_batchedIiLi128ELi8EdPKdPKS1_PKPdEviT3_lT4_lT_lT5_lS9_li.private_seg_size, 0
	.set _ZL27rocblas_axpy_kernel_batchedIiLi128ELi8EdPKdPKS1_PKPdEviT3_lT4_lT_lT5_lS9_li.uses_vcc, 1
	.set _ZL27rocblas_axpy_kernel_batchedIiLi128ELi8EdPKdPKS1_PKPdEviT3_lT4_lT_lT5_lS9_li.uses_flat_scratch, 0
	.set _ZL27rocblas_axpy_kernel_batchedIiLi128ELi8EdPKdPKS1_PKPdEviT3_lT4_lT_lT5_lS9_li.has_dyn_sized_stack, 0
	.set _ZL27rocblas_axpy_kernel_batchedIiLi128ELi8EdPKdPKS1_PKPdEviT3_lT4_lT_lT5_lS9_li.has_recursion, 0
	.set _ZL27rocblas_axpy_kernel_batchedIiLi128ELi8EdPKdPKS1_PKPdEviT3_lT4_lT_lT5_lS9_li.has_indirect_call, 0
	.section	.AMDGPU.csdata,"",@progbits
; Kernel info:
; codeLenInByte = 1140
; TotalNumSgprs: 18
; NumVgprs: 16
; ScratchSize: 0
; MemoryBound: 0
; FloatMode: 240
; IeeeMode: 1
; LDSByteSize: 0 bytes/workgroup (compile time only)
; SGPRBlocks: 0
; VGPRBlocks: 0
; NumSGPRsForWavesPerEU: 18
; NumVGPRsForWavesPerEU: 16
; NamedBarCnt: 0
; Occupancy: 16
; WaveLimiterHint : 1
; COMPUTE_PGM_RSRC2:SCRATCH_EN: 0
; COMPUTE_PGM_RSRC2:USER_SGPR: 2
; COMPUTE_PGM_RSRC2:TRAP_HANDLER: 0
; COMPUTE_PGM_RSRC2:TGID_X_EN: 1
; COMPUTE_PGM_RSRC2:TGID_Y_EN: 0
; COMPUTE_PGM_RSRC2:TGID_Z_EN: 1
; COMPUTE_PGM_RSRC2:TIDIG_COMP_CNT: 1
	.section	.text._ZL27rocblas_axpy_kernel_batchedIiLi128ELi8EddPKPKdPKPdEviT3_lT4_lT_lT5_lS9_li,"axG",@progbits,_ZL27rocblas_axpy_kernel_batchedIiLi128ELi8EddPKPKdPKPdEviT3_lT4_lT_lT5_lS9_li,comdat
	.globl	_ZL27rocblas_axpy_kernel_batchedIiLi128ELi8EddPKPKdPKPdEviT3_lT4_lT_lT5_lS9_li ; -- Begin function _ZL27rocblas_axpy_kernel_batchedIiLi128ELi8EddPKPKdPKPdEviT3_lT4_lT_lT5_lS9_li
	.p2align	8
	.type	_ZL27rocblas_axpy_kernel_batchedIiLi128ELi8EddPKPKdPKPdEviT3_lT4_lT_lT5_lS9_li,@function
_ZL27rocblas_axpy_kernel_batchedIiLi128ELi8EddPKPKdPKPdEviT3_lT4_lT_lT5_lS9_li: ; @_ZL27rocblas_axpy_kernel_batchedIiLi128ELi8EddPKPKdPKPdEviT3_lT4_lT_lT5_lS9_li
; %bb.0:
	s_load_b32 s4, s[0:1], 0x0
	s_bfe_u32 s2, ttmp6, 0x4000c
	s_and_b32 s3, ttmp6, 15
	s_add_co_i32 s5, s2, 1
	s_getreg_b32 s2, hwreg(HW_REG_IB_STS2, 6, 4)
	s_mul_i32 s5, ttmp9, s5
	v_and_b32_e32 v1, 0x3ff, v0
	s_add_co_i32 s3, s3, s5
	v_mov_b32_e32 v3, 0
	s_wait_kmcnt 0x0
	s_ashr_i32 s5, s4, 31
	s_cmp_eq_u32 s2, 0
	s_cselect_b32 s3, ttmp9, s3
	s_delay_alu instid0(SALU_CYCLE_1) | instskip(SKIP_1) | instid1(VALU_DEP_1)
	v_lshl_add_u32 v2, s3, 7, v1
	s_mov_b32 s3, exec_lo
	v_cmpx_gt_i64_e64 s[4:5], v[2:3]
	s_cbranch_execz .LBB91_12
; %bb.1:
	s_load_b32 s12, s[0:1], 0x58
	s_bfe_u32 s3, ttmp6, 0x40014
	v_lshrrev_b32_e32 v0, 8, v0
	s_lshr_b32 s4, ttmp7, 16
	s_add_co_i32 s3, s3, 1
	s_bfe_u32 s5, ttmp6, 0x40008
	s_mul_i32 s3, s4, s3
	v_and_b32_e32 v0, 0xffc, v0
	s_add_co_i32 s5, s5, s3
	s_cmp_eq_u32 s2, 0
	s_cselect_b32 s2, s4, s5
	s_delay_alu instid0(VALU_DEP_1) | instid1(SALU_CYCLE_1)
	v_lshl_add_u32 v4, s2, 5, v0
	s_wait_kmcnt 0x0
	s_delay_alu instid0(VALU_DEP_1)
	v_cmp_gt_u32_e32 vcc_lo, s12, v4
	s_and_b32 exec_lo, exec_lo, vcc_lo
	s_cbranch_execz .LBB91_12
; %bb.2:
	s_clause 0x3
	s_load_b32 s2, s[0:1], 0x28
	s_load_b32 s8, s[0:1], 0x48
	s_load_b128 s[4:7], s[0:1], 0x38
	s_load_b32 s13, s[0:1], 0x68
	s_wait_kmcnt 0x0
	s_ashr_i32 s3, s2, 31
	s_ashr_i32 s9, s8, 31
	v_mul_u64_e32 v[0:1], s[2:3], v[2:3]
	v_mul_u64_e32 v[2:3], s[8:9], v[2:3]
	s_clause 0x1
	s_load_b64 s[2:3], s[0:1], 0x8
	s_load_b128 s[8:11], s[0:1], 0x18
	s_wait_xcnt 0x0
	s_lshl_b32 s1, s13, 5
	s_mov_b32 s13, 0
	s_wait_kmcnt 0x0
	v_cmp_neq_f64_e64 s0, s[2:3], 0
	s_branch .LBB91_4
.LBB91_3:                               ;   in Loop: Header=BB91_4 Depth=1
	s_wait_xcnt 0x0
	s_or_b32 exec_lo, exec_lo, s14
	v_add_nc_u32_e32 v4, s1, v4
	s_delay_alu instid0(VALU_DEP_1) | instskip(SKIP_1) | instid1(SALU_CYCLE_1)
	v_cmp_le_u32_e32 vcc_lo, s12, v4
	s_or_b32 s13, vcc_lo, s13
	s_and_not1_b32 exec_lo, exec_lo, s13
	s_cbranch_execz .LBB91_12
.LBB91_4:                               ; =>This Inner Loop Header: Depth=1
	s_delay_alu instid0(VALU_DEP_1)
	s_and_not1_b32 vcc_lo, exec_lo, s0
	s_cbranch_vccnz .LBB91_6
; %bb.5:                                ;   in Loop: Header=BB91_4 Depth=1
	s_clause 0x1
	global_load_b64 v[6:7], v4, s[4:5] scale_offset
	global_load_b64 v[8:9], v4, s[8:9] scale_offset
	s_wait_loadcnt 0x1
	v_lshl_add_u64 v[6:7], s[6:7], 3, v[6:7]
	s_wait_loadcnt 0x0
	v_lshl_add_u64 v[8:9], s[10:11], 3, v[8:9]
	s_delay_alu instid0(VALU_DEP_2) | instskip(NEXT) | instid1(VALU_DEP_2)
	v_lshl_add_u64 v[6:7], v[2:3], 3, v[6:7]
	v_lshl_add_u64 v[8:9], v[0:1], 3, v[8:9]
	flat_load_b64 v[10:11], v[6:7]
	flat_load_b64 v[12:13], v[8:9]
	s_wait_loadcnt_dscnt 0x0
	v_fmac_f64_e32 v[10:11], s[2:3], v[12:13]
	flat_store_b64 v[6:7], v[10:11]
.LBB91_6:                               ;   in Loop: Header=BB91_4 Depth=1
	v_add_nc_u32_e32 v5, 1, v4
	s_delay_alu instid0(VALU_DEP_1)
	v_cmp_gt_u32_e32 vcc_lo, s12, v5
	s_and_b32 s15, s0, vcc_lo
	s_wait_xcnt 0x0
	s_and_saveexec_b32 s14, s15
	s_cbranch_execz .LBB91_8
; %bb.7:                                ;   in Loop: Header=BB91_4 Depth=1
	s_clause 0x1
	global_load_b64 v[6:7], v4, s[4:5] offset:8 scale_offset
	global_load_b64 v[8:9], v4, s[8:9] offset:8 scale_offset
	s_wait_loadcnt 0x1
	v_lshl_add_u64 v[6:7], s[6:7], 3, v[6:7]
	s_wait_loadcnt 0x0
	v_lshl_add_u64 v[8:9], s[10:11], 3, v[8:9]
	s_delay_alu instid0(VALU_DEP_2) | instskip(NEXT) | instid1(VALU_DEP_2)
	v_lshl_add_u64 v[6:7], v[2:3], 3, v[6:7]
	v_lshl_add_u64 v[8:9], v[0:1], 3, v[8:9]
	flat_load_b64 v[10:11], v[6:7]
	flat_load_b64 v[12:13], v[8:9]
	s_wait_loadcnt_dscnt 0x0
	v_fmac_f64_e32 v[10:11], s[2:3], v[12:13]
	flat_store_b64 v[6:7], v[10:11]
.LBB91_8:                               ;   in Loop: Header=BB91_4 Depth=1
	s_wait_xcnt 0x0
	s_or_b32 exec_lo, exec_lo, s14
	v_add_nc_u32_e32 v5, 2, v4
	s_delay_alu instid0(VALU_DEP_1) | instskip(SKIP_1) | instid1(SALU_CYCLE_1)
	v_cmp_gt_u32_e32 vcc_lo, s12, v5
	s_and_b32 s15, s0, vcc_lo
	s_and_saveexec_b32 s14, s15
	s_cbranch_execz .LBB91_10
; %bb.9:                                ;   in Loop: Header=BB91_4 Depth=1
	s_clause 0x1
	global_load_b64 v[6:7], v4, s[4:5] offset:16 scale_offset
	global_load_b64 v[8:9], v4, s[8:9] offset:16 scale_offset
	s_wait_loadcnt 0x1
	v_lshl_add_u64 v[6:7], s[6:7], 3, v[6:7]
	s_wait_loadcnt 0x0
	v_lshl_add_u64 v[8:9], s[10:11], 3, v[8:9]
	s_delay_alu instid0(VALU_DEP_2) | instskip(NEXT) | instid1(VALU_DEP_2)
	v_lshl_add_u64 v[6:7], v[2:3], 3, v[6:7]
	v_lshl_add_u64 v[8:9], v[0:1], 3, v[8:9]
	flat_load_b64 v[10:11], v[6:7]
	flat_load_b64 v[12:13], v[8:9]
	s_wait_loadcnt_dscnt 0x0
	v_fmac_f64_e32 v[10:11], s[2:3], v[12:13]
	flat_store_b64 v[6:7], v[10:11]
.LBB91_10:                              ;   in Loop: Header=BB91_4 Depth=1
	s_wait_xcnt 0x0
	s_or_b32 exec_lo, exec_lo, s14
	v_add_nc_u32_e32 v5, 3, v4
	s_delay_alu instid0(VALU_DEP_1) | instskip(SKIP_1) | instid1(SALU_CYCLE_1)
	v_cmp_gt_u32_e32 vcc_lo, s12, v5
	s_and_b32 s15, s0, vcc_lo
	s_and_saveexec_b32 s14, s15
	s_cbranch_execz .LBB91_3
; %bb.11:                               ;   in Loop: Header=BB91_4 Depth=1
	s_clause 0x1
	global_load_b64 v[6:7], v4, s[4:5] offset:24 scale_offset
	global_load_b64 v[8:9], v4, s[8:9] offset:24 scale_offset
	s_wait_loadcnt 0x1
	v_lshl_add_u64 v[6:7], s[6:7], 3, v[6:7]
	s_wait_loadcnt 0x0
	v_lshl_add_u64 v[8:9], s[10:11], 3, v[8:9]
	s_delay_alu instid0(VALU_DEP_2) | instskip(NEXT) | instid1(VALU_DEP_2)
	v_lshl_add_u64 v[6:7], v[2:3], 3, v[6:7]
	v_lshl_add_u64 v[8:9], v[0:1], 3, v[8:9]
	flat_load_b64 v[10:11], v[6:7]
	flat_load_b64 v[12:13], v[8:9]
	s_wait_loadcnt_dscnt 0x0
	v_fmac_f64_e32 v[10:11], s[2:3], v[12:13]
	flat_store_b64 v[6:7], v[10:11]
	s_branch .LBB91_3
.LBB91_12:
	s_endpgm
	.section	.rodata,"a",@progbits
	.p2align	6, 0x0
	.amdhsa_kernel _ZL27rocblas_axpy_kernel_batchedIiLi128ELi8EddPKPKdPKPdEviT3_lT4_lT_lT5_lS9_li
		.amdhsa_group_segment_fixed_size 0
		.amdhsa_private_segment_fixed_size 0
		.amdhsa_kernarg_size 352
		.amdhsa_user_sgpr_count 2
		.amdhsa_user_sgpr_dispatch_ptr 0
		.amdhsa_user_sgpr_queue_ptr 0
		.amdhsa_user_sgpr_kernarg_segment_ptr 1
		.amdhsa_user_sgpr_dispatch_id 0
		.amdhsa_user_sgpr_kernarg_preload_length 0
		.amdhsa_user_sgpr_kernarg_preload_offset 0
		.amdhsa_user_sgpr_private_segment_size 0
		.amdhsa_wavefront_size32 1
		.amdhsa_uses_dynamic_stack 0
		.amdhsa_enable_private_segment 0
		.amdhsa_system_sgpr_workgroup_id_x 1
		.amdhsa_system_sgpr_workgroup_id_y 0
		.amdhsa_system_sgpr_workgroup_id_z 1
		.amdhsa_system_sgpr_workgroup_info 0
		.amdhsa_system_vgpr_workitem_id 1
		.amdhsa_next_free_vgpr 14
		.amdhsa_next_free_sgpr 16
		.amdhsa_named_barrier_count 0
		.amdhsa_reserve_vcc 1
		.amdhsa_float_round_mode_32 0
		.amdhsa_float_round_mode_16_64 0
		.amdhsa_float_denorm_mode_32 3
		.amdhsa_float_denorm_mode_16_64 3
		.amdhsa_fp16_overflow 0
		.amdhsa_memory_ordered 1
		.amdhsa_forward_progress 1
		.amdhsa_inst_pref_size 7
		.amdhsa_round_robin_scheduling 0
		.amdhsa_exception_fp_ieee_invalid_op 0
		.amdhsa_exception_fp_denorm_src 0
		.amdhsa_exception_fp_ieee_div_zero 0
		.amdhsa_exception_fp_ieee_overflow 0
		.amdhsa_exception_fp_ieee_underflow 0
		.amdhsa_exception_fp_ieee_inexact 0
		.amdhsa_exception_int_div_zero 0
	.end_amdhsa_kernel
	.section	.text._ZL27rocblas_axpy_kernel_batchedIiLi128ELi8EddPKPKdPKPdEviT3_lT4_lT_lT5_lS9_li,"axG",@progbits,_ZL27rocblas_axpy_kernel_batchedIiLi128ELi8EddPKPKdPKPdEviT3_lT4_lT_lT5_lS9_li,comdat
.Lfunc_end91:
	.size	_ZL27rocblas_axpy_kernel_batchedIiLi128ELi8EddPKPKdPKPdEviT3_lT4_lT_lT5_lS9_li, .Lfunc_end91-_ZL27rocblas_axpy_kernel_batchedIiLi128ELi8EddPKPKdPKPdEviT3_lT4_lT_lT5_lS9_li
                                        ; -- End function
	.set _ZL27rocblas_axpy_kernel_batchedIiLi128ELi8EddPKPKdPKPdEviT3_lT4_lT_lT5_lS9_li.num_vgpr, 14
	.set _ZL27rocblas_axpy_kernel_batchedIiLi128ELi8EddPKPKdPKPdEviT3_lT4_lT_lT5_lS9_li.num_agpr, 0
	.set _ZL27rocblas_axpy_kernel_batchedIiLi128ELi8EddPKPKdPKPdEviT3_lT4_lT_lT5_lS9_li.numbered_sgpr, 16
	.set _ZL27rocblas_axpy_kernel_batchedIiLi128ELi8EddPKPKdPKPdEviT3_lT4_lT_lT5_lS9_li.num_named_barrier, 0
	.set _ZL27rocblas_axpy_kernel_batchedIiLi128ELi8EddPKPKdPKPdEviT3_lT4_lT_lT5_lS9_li.private_seg_size, 0
	.set _ZL27rocblas_axpy_kernel_batchedIiLi128ELi8EddPKPKdPKPdEviT3_lT4_lT_lT5_lS9_li.uses_vcc, 1
	.set _ZL27rocblas_axpy_kernel_batchedIiLi128ELi8EddPKPKdPKPdEviT3_lT4_lT_lT5_lS9_li.uses_flat_scratch, 0
	.set _ZL27rocblas_axpy_kernel_batchedIiLi128ELi8EddPKPKdPKPdEviT3_lT4_lT_lT5_lS9_li.has_dyn_sized_stack, 0
	.set _ZL27rocblas_axpy_kernel_batchedIiLi128ELi8EddPKPKdPKPdEviT3_lT4_lT_lT5_lS9_li.has_recursion, 0
	.set _ZL27rocblas_axpy_kernel_batchedIiLi128ELi8EddPKPKdPKPdEviT3_lT4_lT_lT5_lS9_li.has_indirect_call, 0
	.section	.AMDGPU.csdata,"",@progbits
; Kernel info:
; codeLenInByte = 896
; TotalNumSgprs: 18
; NumVgprs: 14
; ScratchSize: 0
; MemoryBound: 0
; FloatMode: 240
; IeeeMode: 1
; LDSByteSize: 0 bytes/workgroup (compile time only)
; SGPRBlocks: 0
; VGPRBlocks: 0
; NumSGPRsForWavesPerEU: 18
; NumVGPRsForWavesPerEU: 14
; NamedBarCnt: 0
; Occupancy: 16
; WaveLimiterHint : 1
; COMPUTE_PGM_RSRC2:SCRATCH_EN: 0
; COMPUTE_PGM_RSRC2:USER_SGPR: 2
; COMPUTE_PGM_RSRC2:TRAP_HANDLER: 0
; COMPUTE_PGM_RSRC2:TGID_X_EN: 1
; COMPUTE_PGM_RSRC2:TGID_Y_EN: 0
; COMPUTE_PGM_RSRC2:TGID_Z_EN: 1
; COMPUTE_PGM_RSRC2:TIDIG_COMP_CNT: 1
	.section	.text._ZL19rocblas_axpy_kernelIiLi256EdPKdPKS1_PKPdEviT2_lT3_lT_lT4_lS9_li,"axG",@progbits,_ZL19rocblas_axpy_kernelIiLi256EdPKdPKS1_PKPdEviT2_lT3_lT_lT4_lS9_li,comdat
	.globl	_ZL19rocblas_axpy_kernelIiLi256EdPKdPKS1_PKPdEviT2_lT3_lT_lT4_lS9_li ; -- Begin function _ZL19rocblas_axpy_kernelIiLi256EdPKdPKS1_PKPdEviT2_lT3_lT_lT4_lS9_li
	.p2align	8
	.type	_ZL19rocblas_axpy_kernelIiLi256EdPKdPKS1_PKPdEviT2_lT3_lT_lT4_lS9_li,@function
_ZL19rocblas_axpy_kernelIiLi256EdPKdPKS1_PKPdEviT2_lT3_lT_lT4_lS9_li: ; @_ZL19rocblas_axpy_kernelIiLi256EdPKdPKS1_PKPdEviT2_lT3_lT_lT4_lS9_li
; %bb.0:
	s_load_b32 s16, s[0:1], 0x58
	s_bfe_u32 s2, ttmp6, 0x40014
	s_lshr_b32 s3, ttmp7, 16
	s_add_co_i32 s2, s2, 1
	s_bfe_u32 s5, ttmp6, 0x40008
	s_mul_i32 s2, s3, s2
	s_getreg_b32 s4, hwreg(HW_REG_IB_STS2, 6, 4)
	s_add_co_i32 s5, s5, s2
	s_cmp_eq_u32 s4, 0
	s_cselect_b32 s2, s3, s5
	s_mov_b32 s3, 0
	s_wait_kmcnt 0x0
	s_cmp_ge_u32 s2, s16
	s_cbranch_scc1 .LBB92_5
; %bb.1:
	s_clause 0x2
	s_load_b32 s18, s[0:1], 0x0
	s_load_b32 s6, s[0:1], 0x48
	;; [unrolled: 1-line block ×3, first 2 shown]
	s_bfe_u32 s5, ttmp6, 0x4000c
	s_and_b32 s7, ttmp6, 15
	s_add_co_i32 s5, s5, 1
	v_mov_b32_e32 v1, 0
	s_mul_i32 s5, ttmp9, s5
	s_delay_alu instid0(SALU_CYCLE_1)
	s_add_co_i32 s5, s7, s5
	s_wait_kmcnt 0x0
	s_ashr_i32 s19, s18, 31
	s_ashr_i32 s7, s6, 31
	;; [unrolled: 1-line block ×3, first 2 shown]
	s_cmp_eq_u32 s4, 0
	s_cselect_b32 s4, ttmp9, s5
	s_delay_alu instid0(SALU_CYCLE_1) | instskip(NEXT) | instid1(VALU_DEP_1)
	v_lshl_or_b32 v0, s4, 8, v0
	v_mul_u64_e32 v[2:3], s[8:9], v[0:1]
	v_mul_u64_e32 v[4:5], s[6:7], v[0:1]
	s_clause 0x1
	s_load_b256 s[4:11], s[0:1], 0x8
	s_load_b128 s[12:15], s[0:1], 0x38
	v_cmp_gt_i64_e32 vcc_lo, s[18:19], v[0:1]
	s_wait_kmcnt 0x0
	s_lshl_b64 s[10:11], s[10:11], 3
	s_lshl_b64 s[14:15], s[14:15], 3
	s_branch .LBB92_3
.LBB92_2:                               ;   in Loop: Header=BB92_3 Depth=1
	s_wait_xcnt 0x0
	s_or_b32 exec_lo, exec_lo, s0
	s_add_co_i32 s2, s2, 0x10000
	s_delay_alu instid0(SALU_CYCLE_1)
	s_cmp_lt_u32 s2, s16
	s_cbranch_scc0 .LBB92_5
.LBB92_3:                               ; =>This Inner Loop Header: Depth=1
	s_mul_u64 s[0:1], s[6:7], s[2:3]
	s_delay_alu instid0(SALU_CYCLE_1) | instskip(NEXT) | instid1(SALU_CYCLE_1)
	s_lshl_b64 s[0:1], s[0:1], 3
	s_add_nc_u64 s[0:1], s[4:5], s[0:1]
	global_load_b64 v[6:7], v1, s[0:1]
	s_wait_loadcnt 0x0
	s_wait_xcnt 0x0
	v_cmp_neq_f64_e64 s0, 0, v[6:7]
	s_and_b32 s1, vcc_lo, s0
	s_delay_alu instid0(SALU_CYCLE_1)
	s_and_saveexec_b32 s0, s1
	s_cbranch_execz .LBB92_2
; %bb.4:                                ;   in Loop: Header=BB92_3 Depth=1
	s_lshl_b64 s[18:19], s[2:3], 3
	s_delay_alu instid0(SALU_CYCLE_1)
	s_add_nc_u64 s[20:21], s[12:13], s[18:19]
	s_add_nc_u64 s[18:19], s[8:9], s[18:19]
	s_load_b64 s[22:23], s[20:21], 0x0
	s_load_b64 s[24:25], s[18:19], 0x0
	s_wait_kmcnt 0x0
	s_wait_xcnt 0x0
	s_add_nc_u64 s[18:19], s[22:23], s[14:15]
	s_add_nc_u64 s[20:21], s[24:25], s[10:11]
	v_lshl_add_u64 v[8:9], v[4:5], 3, s[18:19]
	v_lshl_add_u64 v[10:11], v[2:3], 3, s[20:21]
	flat_load_b64 v[12:13], v[8:9]
	flat_load_b64 v[14:15], v[10:11]
	s_wait_loadcnt_dscnt 0x0
	v_fmac_f64_e32 v[12:13], v[6:7], v[14:15]
	flat_store_b64 v[8:9], v[12:13]
	s_branch .LBB92_2
.LBB92_5:
	s_endpgm
	.section	.rodata,"a",@progbits
	.p2align	6, 0x0
	.amdhsa_kernel _ZL19rocblas_axpy_kernelIiLi256EdPKdPKS1_PKPdEviT2_lT3_lT_lT4_lS9_li
		.amdhsa_group_segment_fixed_size 0
		.amdhsa_private_segment_fixed_size 0
		.amdhsa_kernarg_size 92
		.amdhsa_user_sgpr_count 2
		.amdhsa_user_sgpr_dispatch_ptr 0
		.amdhsa_user_sgpr_queue_ptr 0
		.amdhsa_user_sgpr_kernarg_segment_ptr 1
		.amdhsa_user_sgpr_dispatch_id 0
		.amdhsa_user_sgpr_kernarg_preload_length 0
		.amdhsa_user_sgpr_kernarg_preload_offset 0
		.amdhsa_user_sgpr_private_segment_size 0
		.amdhsa_wavefront_size32 1
		.amdhsa_uses_dynamic_stack 0
		.amdhsa_enable_private_segment 0
		.amdhsa_system_sgpr_workgroup_id_x 1
		.amdhsa_system_sgpr_workgroup_id_y 0
		.amdhsa_system_sgpr_workgroup_id_z 1
		.amdhsa_system_sgpr_workgroup_info 0
		.amdhsa_system_vgpr_workitem_id 0
		.amdhsa_next_free_vgpr 16
		.amdhsa_next_free_sgpr 26
		.amdhsa_named_barrier_count 0
		.amdhsa_reserve_vcc 1
		.amdhsa_float_round_mode_32 0
		.amdhsa_float_round_mode_16_64 0
		.amdhsa_float_denorm_mode_32 3
		.amdhsa_float_denorm_mode_16_64 3
		.amdhsa_fp16_overflow 0
		.amdhsa_memory_ordered 1
		.amdhsa_forward_progress 1
		.amdhsa_inst_pref_size 4
		.amdhsa_round_robin_scheduling 0
		.amdhsa_exception_fp_ieee_invalid_op 0
		.amdhsa_exception_fp_denorm_src 0
		.amdhsa_exception_fp_ieee_div_zero 0
		.amdhsa_exception_fp_ieee_overflow 0
		.amdhsa_exception_fp_ieee_underflow 0
		.amdhsa_exception_fp_ieee_inexact 0
		.amdhsa_exception_int_div_zero 0
	.end_amdhsa_kernel
	.section	.text._ZL19rocblas_axpy_kernelIiLi256EdPKdPKS1_PKPdEviT2_lT3_lT_lT4_lS9_li,"axG",@progbits,_ZL19rocblas_axpy_kernelIiLi256EdPKdPKS1_PKPdEviT2_lT3_lT_lT4_lS9_li,comdat
.Lfunc_end92:
	.size	_ZL19rocblas_axpy_kernelIiLi256EdPKdPKS1_PKPdEviT2_lT3_lT_lT4_lS9_li, .Lfunc_end92-_ZL19rocblas_axpy_kernelIiLi256EdPKdPKS1_PKPdEviT2_lT3_lT_lT4_lS9_li
                                        ; -- End function
	.set _ZL19rocblas_axpy_kernelIiLi256EdPKdPKS1_PKPdEviT2_lT3_lT_lT4_lS9_li.num_vgpr, 16
	.set _ZL19rocblas_axpy_kernelIiLi256EdPKdPKS1_PKPdEviT2_lT3_lT_lT4_lS9_li.num_agpr, 0
	.set _ZL19rocblas_axpy_kernelIiLi256EdPKdPKS1_PKPdEviT2_lT3_lT_lT4_lS9_li.numbered_sgpr, 26
	.set _ZL19rocblas_axpy_kernelIiLi256EdPKdPKS1_PKPdEviT2_lT3_lT_lT4_lS9_li.num_named_barrier, 0
	.set _ZL19rocblas_axpy_kernelIiLi256EdPKdPKS1_PKPdEviT2_lT3_lT_lT4_lS9_li.private_seg_size, 0
	.set _ZL19rocblas_axpy_kernelIiLi256EdPKdPKS1_PKPdEviT2_lT3_lT_lT4_lS9_li.uses_vcc, 1
	.set _ZL19rocblas_axpy_kernelIiLi256EdPKdPKS1_PKPdEviT2_lT3_lT_lT4_lS9_li.uses_flat_scratch, 0
	.set _ZL19rocblas_axpy_kernelIiLi256EdPKdPKS1_PKPdEviT2_lT3_lT_lT4_lS9_li.has_dyn_sized_stack, 0
	.set _ZL19rocblas_axpy_kernelIiLi256EdPKdPKS1_PKPdEviT2_lT3_lT_lT4_lS9_li.has_recursion, 0
	.set _ZL19rocblas_axpy_kernelIiLi256EdPKdPKS1_PKPdEviT2_lT3_lT_lT4_lS9_li.has_indirect_call, 0
	.section	.AMDGPU.csdata,"",@progbits
; Kernel info:
; codeLenInByte = 416
; TotalNumSgprs: 28
; NumVgprs: 16
; ScratchSize: 0
; MemoryBound: 0
; FloatMode: 240
; IeeeMode: 1
; LDSByteSize: 0 bytes/workgroup (compile time only)
; SGPRBlocks: 0
; VGPRBlocks: 0
; NumSGPRsForWavesPerEU: 28
; NumVGPRsForWavesPerEU: 16
; NamedBarCnt: 0
; Occupancy: 16
; WaveLimiterHint : 1
; COMPUTE_PGM_RSRC2:SCRATCH_EN: 0
; COMPUTE_PGM_RSRC2:USER_SGPR: 2
; COMPUTE_PGM_RSRC2:TRAP_HANDLER: 0
; COMPUTE_PGM_RSRC2:TGID_X_EN: 1
; COMPUTE_PGM_RSRC2:TGID_Y_EN: 0
; COMPUTE_PGM_RSRC2:TGID_Z_EN: 1
; COMPUTE_PGM_RSRC2:TIDIG_COMP_CNT: 0
	.section	.text._ZL19rocblas_axpy_kernelIiLi256EddPKPKdPKPdEviT2_lT3_lT_lT4_lS9_li,"axG",@progbits,_ZL19rocblas_axpy_kernelIiLi256EddPKPKdPKPdEviT2_lT3_lT_lT4_lS9_li,comdat
	.globl	_ZL19rocblas_axpy_kernelIiLi256EddPKPKdPKPdEviT2_lT3_lT_lT4_lS9_li ; -- Begin function _ZL19rocblas_axpy_kernelIiLi256EddPKPKdPKPdEviT2_lT3_lT_lT4_lS9_li
	.p2align	8
	.type	_ZL19rocblas_axpy_kernelIiLi256EddPKPKdPKPdEviT2_lT3_lT_lT4_lS9_li,@function
_ZL19rocblas_axpy_kernelIiLi256EddPKPKdPKPdEviT2_lT3_lT_lT4_lS9_li: ; @_ZL19rocblas_axpy_kernelIiLi256EddPKPKdPKPdEviT2_lT3_lT_lT4_lS9_li
; %bb.0:
	s_load_b32 s12, s[0:1], 0x58
	s_bfe_u32 s2, ttmp6, 0x40014
	s_lshr_b32 s3, ttmp7, 16
	s_add_co_i32 s2, s2, 1
	s_bfe_u32 s5, ttmp6, 0x40008
	s_mul_i32 s2, s3, s2
	s_getreg_b32 s4, hwreg(HW_REG_IB_STS2, 6, 4)
	s_add_co_i32 s5, s5, s2
	s_cmp_eq_u32 s4, 0
	s_cselect_b32 s13, s3, s5
	s_wait_kmcnt 0x0
	s_cmp_ge_u32 s13, s12
	s_cbranch_scc1 .LBB93_5
; %bb.1:
	s_clause 0x3
	s_load_b32 s14, s[0:1], 0x0
	s_load_b32 s6, s[0:1], 0x28
	;; [unrolled: 1-line block ×3, first 2 shown]
	s_load_b64 s[2:3], s[0:1], 0x8
	s_bfe_u32 s5, ttmp6, 0x4000c
	s_and_b32 s7, ttmp6, 15
	s_add_co_i32 s5, s5, 1
	v_mov_b32_e32 v5, 0
	s_mul_i32 s5, ttmp9, s5
	s_delay_alu instid0(SALU_CYCLE_1)
	s_add_co_i32 s5, s7, s5
	s_wait_kmcnt 0x0
	s_ashr_i32 s15, s14, 31
	s_ashr_i32 s7, s6, 31
	;; [unrolled: 1-line block ×3, first 2 shown]
	s_cmp_eq_u32 s4, 0
	v_cmp_neq_f64_e64 s16, s[2:3], 0
	s_cselect_b32 s4, ttmp9, s5
	s_delay_alu instid0(SALU_CYCLE_1) | instskip(NEXT) | instid1(VALU_DEP_1)
	v_lshl_or_b32 v4, s4, 8, v0
	v_mul_u64_e32 v[0:1], s[6:7], v[4:5]
	v_mul_u64_e32 v[2:3], s[8:9], v[4:5]
	s_clause 0x1
	s_load_b128 s[4:7], s[0:1], 0x18
	s_load_b128 s[8:11], s[0:1], 0x38
	v_cmp_gt_i64_e32 vcc_lo, s[14:15], v[4:5]
	s_wait_kmcnt 0x0
	s_lshl_b64 s[0:1], s[6:7], 3
	s_lshl_b64 s[6:7], s[10:11], 3
	s_and_b32 s14, s16, vcc_lo
	s_branch .LBB93_3
.LBB93_2:                               ;   in Loop: Header=BB93_3 Depth=1
	s_wait_xcnt 0x0
	s_or_b32 exec_lo, exec_lo, s10
	s_add_co_i32 s13, s13, 0x10000
	s_delay_alu instid0(SALU_CYCLE_1)
	s_cmp_lt_u32 s13, s12
	s_cbranch_scc0 .LBB93_5
.LBB93_3:                               ; =>This Inner Loop Header: Depth=1
	s_and_saveexec_b32 s10, s14
	s_cbranch_execz .LBB93_2
; %bb.4:                                ;   in Loop: Header=BB93_3 Depth=1
	s_load_b64 s[16:17], s[8:9], s13 offset:0x0 scale_offset
	s_load_b64 s[18:19], s[4:5], s13 offset:0x0 scale_offset
	s_wait_kmcnt 0x0
	s_add_nc_u64 s[16:17], s[16:17], s[6:7]
	s_add_nc_u64 s[18:19], s[18:19], s[0:1]
	s_delay_alu instid0(VALU_DEP_2) | instskip(NEXT) | instid1(VALU_DEP_4)
	v_lshl_add_u64 v[4:5], v[2:3], 3, s[16:17]
	v_lshl_add_u64 v[6:7], v[0:1], 3, s[18:19]
	flat_load_b64 v[8:9], v[4:5]
	flat_load_b64 v[10:11], v[6:7]
	s_wait_loadcnt_dscnt 0x0
	v_fmac_f64_e32 v[8:9], s[2:3], v[10:11]
	flat_store_b64 v[4:5], v[8:9]
	s_branch .LBB93_2
.LBB93_5:
	s_endpgm
	.section	.rodata,"a",@progbits
	.p2align	6, 0x0
	.amdhsa_kernel _ZL19rocblas_axpy_kernelIiLi256EddPKPKdPKPdEviT2_lT3_lT_lT4_lS9_li
		.amdhsa_group_segment_fixed_size 0
		.amdhsa_private_segment_fixed_size 0
		.amdhsa_kernarg_size 92
		.amdhsa_user_sgpr_count 2
		.amdhsa_user_sgpr_dispatch_ptr 0
		.amdhsa_user_sgpr_queue_ptr 0
		.amdhsa_user_sgpr_kernarg_segment_ptr 1
		.amdhsa_user_sgpr_dispatch_id 0
		.amdhsa_user_sgpr_kernarg_preload_length 0
		.amdhsa_user_sgpr_kernarg_preload_offset 0
		.amdhsa_user_sgpr_private_segment_size 0
		.amdhsa_wavefront_size32 1
		.amdhsa_uses_dynamic_stack 0
		.amdhsa_enable_private_segment 0
		.amdhsa_system_sgpr_workgroup_id_x 1
		.amdhsa_system_sgpr_workgroup_id_y 0
		.amdhsa_system_sgpr_workgroup_id_z 1
		.amdhsa_system_sgpr_workgroup_info 0
		.amdhsa_system_vgpr_workitem_id 0
		.amdhsa_next_free_vgpr 12
		.amdhsa_next_free_sgpr 20
		.amdhsa_named_barrier_count 0
		.amdhsa_reserve_vcc 1
		.amdhsa_float_round_mode_32 0
		.amdhsa_float_round_mode_16_64 0
		.amdhsa_float_denorm_mode_32 3
		.amdhsa_float_denorm_mode_16_64 3
		.amdhsa_fp16_overflow 0
		.amdhsa_memory_ordered 1
		.amdhsa_forward_progress 1
		.amdhsa_inst_pref_size 3
		.amdhsa_round_robin_scheduling 0
		.amdhsa_exception_fp_ieee_invalid_op 0
		.amdhsa_exception_fp_denorm_src 0
		.amdhsa_exception_fp_ieee_div_zero 0
		.amdhsa_exception_fp_ieee_overflow 0
		.amdhsa_exception_fp_ieee_underflow 0
		.amdhsa_exception_fp_ieee_inexact 0
		.amdhsa_exception_int_div_zero 0
	.end_amdhsa_kernel
	.section	.text._ZL19rocblas_axpy_kernelIiLi256EddPKPKdPKPdEviT2_lT3_lT_lT4_lS9_li,"axG",@progbits,_ZL19rocblas_axpy_kernelIiLi256EddPKPKdPKPdEviT2_lT3_lT_lT4_lS9_li,comdat
.Lfunc_end93:
	.size	_ZL19rocblas_axpy_kernelIiLi256EddPKPKdPKPdEviT2_lT3_lT_lT4_lS9_li, .Lfunc_end93-_ZL19rocblas_axpy_kernelIiLi256EddPKPKdPKPdEviT2_lT3_lT_lT4_lS9_li
                                        ; -- End function
	.set _ZL19rocblas_axpy_kernelIiLi256EddPKPKdPKPdEviT2_lT3_lT_lT4_lS9_li.num_vgpr, 12
	.set _ZL19rocblas_axpy_kernelIiLi256EddPKPKdPKPdEviT2_lT3_lT_lT4_lS9_li.num_agpr, 0
	.set _ZL19rocblas_axpy_kernelIiLi256EddPKPKdPKPdEviT2_lT3_lT_lT4_lS9_li.numbered_sgpr, 20
	.set _ZL19rocblas_axpy_kernelIiLi256EddPKPKdPKPdEviT2_lT3_lT_lT4_lS9_li.num_named_barrier, 0
	.set _ZL19rocblas_axpy_kernelIiLi256EddPKPKdPKPdEviT2_lT3_lT_lT4_lS9_li.private_seg_size, 0
	.set _ZL19rocblas_axpy_kernelIiLi256EddPKPKdPKPdEviT2_lT3_lT_lT4_lS9_li.uses_vcc, 1
	.set _ZL19rocblas_axpy_kernelIiLi256EddPKPKdPKPdEviT2_lT3_lT_lT4_lS9_li.uses_flat_scratch, 0
	.set _ZL19rocblas_axpy_kernelIiLi256EddPKPKdPKPdEviT2_lT3_lT_lT4_lS9_li.has_dyn_sized_stack, 0
	.set _ZL19rocblas_axpy_kernelIiLi256EddPKPKdPKPdEviT2_lT3_lT_lT4_lS9_li.has_recursion, 0
	.set _ZL19rocblas_axpy_kernelIiLi256EddPKPKdPKPdEviT2_lT3_lT_lT4_lS9_li.has_indirect_call, 0
	.section	.AMDGPU.csdata,"",@progbits
; Kernel info:
; codeLenInByte = 364
; TotalNumSgprs: 22
; NumVgprs: 12
; ScratchSize: 0
; MemoryBound: 0
; FloatMode: 240
; IeeeMode: 1
; LDSByteSize: 0 bytes/workgroup (compile time only)
; SGPRBlocks: 0
; VGPRBlocks: 0
; NumSGPRsForWavesPerEU: 22
; NumVGPRsForWavesPerEU: 12
; NamedBarCnt: 0
; Occupancy: 16
; WaveLimiterHint : 1
; COMPUTE_PGM_RSRC2:SCRATCH_EN: 0
; COMPUTE_PGM_RSRC2:USER_SGPR: 2
; COMPUTE_PGM_RSRC2:TRAP_HANDLER: 0
; COMPUTE_PGM_RSRC2:TGID_X_EN: 1
; COMPUTE_PGM_RSRC2:TGID_Y_EN: 0
; COMPUTE_PGM_RSRC2:TGID_Z_EN: 1
; COMPUTE_PGM_RSRC2:TIDIG_COMP_CNT: 0
	.section	.text._ZL19rocblas_axpy_kernelIlLi256EdPKdPKS1_PKPdEviT2_lT3_lT_lT4_lS9_li,"axG",@progbits,_ZL19rocblas_axpy_kernelIlLi256EdPKdPKS1_PKPdEviT2_lT3_lT_lT4_lS9_li,comdat
	.globl	_ZL19rocblas_axpy_kernelIlLi256EdPKdPKS1_PKPdEviT2_lT3_lT_lT4_lS9_li ; -- Begin function _ZL19rocblas_axpy_kernelIlLi256EdPKdPKS1_PKPdEviT2_lT3_lT_lT4_lS9_li
	.p2align	8
	.type	_ZL19rocblas_axpy_kernelIlLi256EdPKdPKS1_PKPdEviT2_lT3_lT_lT4_lS9_li,@function
_ZL19rocblas_axpy_kernelIlLi256EdPKdPKS1_PKPdEviT2_lT3_lT_lT4_lS9_li: ; @_ZL19rocblas_axpy_kernelIlLi256EdPKdPKS1_PKPdEviT2_lT3_lT_lT4_lS9_li
; %bb.0:
	s_load_b32 s16, s[0:1], 0x58
	s_bfe_u32 s2, ttmp6, 0x40014
	s_lshr_b32 s3, ttmp7, 16
	s_add_co_i32 s2, s2, 1
	s_bfe_u32 s4, ttmp6, 0x40008
	s_mul_i32 s2, s3, s2
	s_getreg_b32 s8, hwreg(HW_REG_IB_STS2, 6, 4)
	s_add_co_i32 s4, s4, s2
	s_cmp_eq_u32 s8, 0
	s_cselect_b32 s2, s3, s4
	s_mov_b32 s3, 0
	s_wait_kmcnt 0x0
	s_cmp_ge_u32 s2, s16
	s_cbranch_scc1 .LBB94_5
; %bb.1:
	s_clause 0x2
	s_load_b32 s18, s[0:1], 0x0
	s_load_b128 s[12:15], s[0:1], 0x20
	s_load_b128 s[20:23], s[0:1], 0x40
	s_bfe_u32 s4, ttmp6, 0x4000c
	s_and_b32 s9, ttmp6, 15
	s_add_co_i32 s4, s4, 1
	v_mov_b32_e32 v1, 0
	s_mul_i32 s10, ttmp9, s4
	s_load_b128 s[4:7], s[0:1], 0x8
	s_add_co_i32 s9, s9, s10
	s_wait_kmcnt 0x0
	s_ashr_i32 s19, s18, 31
	s_cmp_eq_u32 s8, 0
	s_cselect_b32 s8, ttmp9, s9
	s_lshl_b64 s[12:13], s[12:13], 3
	v_lshl_or_b32 v0, s8, 8, v0
	s_clause 0x1
	s_load_b64 s[8:9], s[0:1], 0x18
	s_load_b64 s[10:11], s[0:1], 0x38
	s_delay_alu instid0(VALU_DEP_1)
	v_mul_u64_e32 v[2:3], s[14:15], v[0:1]
	v_mul_u64_e32 v[4:5], s[22:23], v[0:1]
	s_lshl_b64 s[14:15], s[20:21], 3
	v_cmp_gt_i64_e32 vcc_lo, s[18:19], v[0:1]
	s_branch .LBB94_3
.LBB94_2:                               ;   in Loop: Header=BB94_3 Depth=1
	s_wait_xcnt 0x0
	s_or_b32 exec_lo, exec_lo, s0
	s_add_co_i32 s2, s2, 0x10000
	s_delay_alu instid0(SALU_CYCLE_1)
	s_cmp_lt_u32 s2, s16
	s_cbranch_scc0 .LBB94_5
.LBB94_3:                               ; =>This Inner Loop Header: Depth=1
	s_wait_xcnt 0x0
	s_mul_u64 s[0:1], s[6:7], s[2:3]
	s_delay_alu instid0(SALU_CYCLE_1) | instskip(NEXT) | instid1(SALU_CYCLE_1)
	s_lshl_b64 s[0:1], s[0:1], 3
	s_add_nc_u64 s[0:1], s[4:5], s[0:1]
	global_load_b64 v[6:7], v1, s[0:1]
	s_wait_loadcnt 0x0
	s_wait_xcnt 0x0
	v_cmp_neq_f64_e64 s0, 0, v[6:7]
	s_and_b32 s1, vcc_lo, s0
	s_delay_alu instid0(SALU_CYCLE_1)
	s_and_saveexec_b32 s0, s1
	s_cbranch_execz .LBB94_2
; %bb.4:                                ;   in Loop: Header=BB94_3 Depth=1
	s_lshl_b64 s[18:19], s[2:3], 3
	s_wait_kmcnt 0x0
	s_add_nc_u64 s[20:21], s[10:11], s[18:19]
	s_add_nc_u64 s[18:19], s[8:9], s[18:19]
	s_load_b64 s[22:23], s[20:21], 0x0
	s_load_b64 s[24:25], s[18:19], 0x0
	s_wait_kmcnt 0x0
	s_wait_xcnt 0x0
	s_add_nc_u64 s[18:19], s[22:23], s[14:15]
	s_add_nc_u64 s[20:21], s[24:25], s[12:13]
	v_lshl_add_u64 v[8:9], v[4:5], 3, s[18:19]
	v_lshl_add_u64 v[10:11], v[2:3], 3, s[20:21]
	flat_load_b64 v[12:13], v[8:9]
	flat_load_b64 v[14:15], v[10:11]
	s_wait_loadcnt_dscnt 0x0
	v_fmac_f64_e32 v[12:13], v[6:7], v[14:15]
	flat_store_b64 v[8:9], v[12:13]
	s_branch .LBB94_2
.LBB94_5:
	s_endpgm
	.section	.rodata,"a",@progbits
	.p2align	6, 0x0
	.amdhsa_kernel _ZL19rocblas_axpy_kernelIlLi256EdPKdPKS1_PKPdEviT2_lT3_lT_lT4_lS9_li
		.amdhsa_group_segment_fixed_size 0
		.amdhsa_private_segment_fixed_size 0
		.amdhsa_kernarg_size 92
		.amdhsa_user_sgpr_count 2
		.amdhsa_user_sgpr_dispatch_ptr 0
		.amdhsa_user_sgpr_queue_ptr 0
		.amdhsa_user_sgpr_kernarg_segment_ptr 1
		.amdhsa_user_sgpr_dispatch_id 0
		.amdhsa_user_sgpr_kernarg_preload_length 0
		.amdhsa_user_sgpr_kernarg_preload_offset 0
		.amdhsa_user_sgpr_private_segment_size 0
		.amdhsa_wavefront_size32 1
		.amdhsa_uses_dynamic_stack 0
		.amdhsa_enable_private_segment 0
		.amdhsa_system_sgpr_workgroup_id_x 1
		.amdhsa_system_sgpr_workgroup_id_y 0
		.amdhsa_system_sgpr_workgroup_id_z 1
		.amdhsa_system_sgpr_workgroup_info 0
		.amdhsa_system_vgpr_workitem_id 0
		.amdhsa_next_free_vgpr 16
		.amdhsa_next_free_sgpr 26
		.amdhsa_named_barrier_count 0
		.amdhsa_reserve_vcc 1
		.amdhsa_float_round_mode_32 0
		.amdhsa_float_round_mode_16_64 0
		.amdhsa_float_denorm_mode_32 3
		.amdhsa_float_denorm_mode_16_64 3
		.amdhsa_fp16_overflow 0
		.amdhsa_memory_ordered 1
		.amdhsa_forward_progress 1
		.amdhsa_inst_pref_size 4
		.amdhsa_round_robin_scheduling 0
		.amdhsa_exception_fp_ieee_invalid_op 0
		.amdhsa_exception_fp_denorm_src 0
		.amdhsa_exception_fp_ieee_div_zero 0
		.amdhsa_exception_fp_ieee_overflow 0
		.amdhsa_exception_fp_ieee_underflow 0
		.amdhsa_exception_fp_ieee_inexact 0
		.amdhsa_exception_int_div_zero 0
	.end_amdhsa_kernel
	.section	.text._ZL19rocblas_axpy_kernelIlLi256EdPKdPKS1_PKPdEviT2_lT3_lT_lT4_lS9_li,"axG",@progbits,_ZL19rocblas_axpy_kernelIlLi256EdPKdPKS1_PKPdEviT2_lT3_lT_lT4_lS9_li,comdat
.Lfunc_end94:
	.size	_ZL19rocblas_axpy_kernelIlLi256EdPKdPKS1_PKPdEviT2_lT3_lT_lT4_lS9_li, .Lfunc_end94-_ZL19rocblas_axpy_kernelIlLi256EdPKdPKS1_PKPdEviT2_lT3_lT_lT4_lS9_li
                                        ; -- End function
	.set _ZL19rocblas_axpy_kernelIlLi256EdPKdPKS1_PKPdEviT2_lT3_lT_lT4_lS9_li.num_vgpr, 16
	.set _ZL19rocblas_axpy_kernelIlLi256EdPKdPKS1_PKPdEviT2_lT3_lT_lT4_lS9_li.num_agpr, 0
	.set _ZL19rocblas_axpy_kernelIlLi256EdPKdPKS1_PKPdEviT2_lT3_lT_lT4_lS9_li.numbered_sgpr, 26
	.set _ZL19rocblas_axpy_kernelIlLi256EdPKdPKS1_PKPdEviT2_lT3_lT_lT4_lS9_li.num_named_barrier, 0
	.set _ZL19rocblas_axpy_kernelIlLi256EdPKdPKS1_PKPdEviT2_lT3_lT_lT4_lS9_li.private_seg_size, 0
	.set _ZL19rocblas_axpy_kernelIlLi256EdPKdPKS1_PKPdEviT2_lT3_lT_lT4_lS9_li.uses_vcc, 1
	.set _ZL19rocblas_axpy_kernelIlLi256EdPKdPKS1_PKPdEviT2_lT3_lT_lT4_lS9_li.uses_flat_scratch, 0
	.set _ZL19rocblas_axpy_kernelIlLi256EdPKdPKS1_PKPdEviT2_lT3_lT_lT4_lS9_li.has_dyn_sized_stack, 0
	.set _ZL19rocblas_axpy_kernelIlLi256EdPKdPKS1_PKPdEviT2_lT3_lT_lT4_lS9_li.has_recursion, 0
	.set _ZL19rocblas_axpy_kernelIlLi256EdPKdPKS1_PKPdEviT2_lT3_lT_lT4_lS9_li.has_indirect_call, 0
	.section	.AMDGPU.csdata,"",@progbits
; Kernel info:
; codeLenInByte = 412
; TotalNumSgprs: 28
; NumVgprs: 16
; ScratchSize: 0
; MemoryBound: 0
; FloatMode: 240
; IeeeMode: 1
; LDSByteSize: 0 bytes/workgroup (compile time only)
; SGPRBlocks: 0
; VGPRBlocks: 0
; NumSGPRsForWavesPerEU: 28
; NumVGPRsForWavesPerEU: 16
; NamedBarCnt: 0
; Occupancy: 16
; WaveLimiterHint : 1
; COMPUTE_PGM_RSRC2:SCRATCH_EN: 0
; COMPUTE_PGM_RSRC2:USER_SGPR: 2
; COMPUTE_PGM_RSRC2:TRAP_HANDLER: 0
; COMPUTE_PGM_RSRC2:TGID_X_EN: 1
; COMPUTE_PGM_RSRC2:TGID_Y_EN: 0
; COMPUTE_PGM_RSRC2:TGID_Z_EN: 1
; COMPUTE_PGM_RSRC2:TIDIG_COMP_CNT: 0
	.section	.text._ZL19rocblas_axpy_kernelIlLi256EddPKPKdPKPdEviT2_lT3_lT_lT4_lS9_li,"axG",@progbits,_ZL19rocblas_axpy_kernelIlLi256EddPKPKdPKPdEviT2_lT3_lT_lT4_lS9_li,comdat
	.globl	_ZL19rocblas_axpy_kernelIlLi256EddPKPKdPKPdEviT2_lT3_lT_lT4_lS9_li ; -- Begin function _ZL19rocblas_axpy_kernelIlLi256EddPKPKdPKPdEviT2_lT3_lT_lT4_lS9_li
	.p2align	8
	.type	_ZL19rocblas_axpy_kernelIlLi256EddPKPKdPKPdEviT2_lT3_lT_lT4_lS9_li,@function
_ZL19rocblas_axpy_kernelIlLi256EddPKPKdPKPdEviT2_lT3_lT_lT4_lS9_li: ; @_ZL19rocblas_axpy_kernelIlLi256EddPKPKdPKPdEviT2_lT3_lT_lT4_lS9_li
; %bb.0:
	s_load_b32 s10, s[0:1], 0x58
	s_bfe_u32 s2, ttmp6, 0x40014
	s_lshr_b32 s3, ttmp7, 16
	s_add_co_i32 s2, s2, 1
	s_bfe_u32 s5, ttmp6, 0x40008
	s_mul_i32 s2, s3, s2
	s_getreg_b32 s4, hwreg(HW_REG_IB_STS2, 6, 4)
	s_add_co_i32 s5, s5, s2
	s_cmp_eq_u32 s4, 0
	s_cselect_b32 s11, s3, s5
	s_wait_kmcnt 0x0
	s_cmp_ge_u32 s11, s10
	s_cbranch_scc1 .LBB95_5
; %bb.1:
	s_clause 0x3
	s_load_b32 s8, s[0:1], 0x0
	s_load_b64 s[2:3], s[0:1], 0x8
	s_load_b128 s[16:19], s[0:1], 0x20
	s_load_b128 s[20:23], s[0:1], 0x40
	s_bfe_u32 s5, ttmp6, 0x4000c
	s_and_b32 s6, ttmp6, 15
	s_add_co_i32 s5, s5, 1
	v_mov_b32_e32 v5, 0
	s_mul_i32 s5, ttmp9, s5
	s_delay_alu instid0(SALU_CYCLE_1)
	s_add_co_i32 s6, s6, s5
	s_wait_kmcnt 0x0
	s_ashr_i32 s9, s8, 31
	s_cmp_eq_u32 s4, 0
	v_cmp_neq_f64_e64 s12, s[2:3], 0
	s_cselect_b32 s4, ttmp9, s6
	s_delay_alu instid0(SALU_CYCLE_1)
	v_lshl_or_b32 v4, s4, 8, v0
	s_clause 0x1
	s_load_b64 s[4:5], s[0:1], 0x18
	s_load_b64 s[6:7], s[0:1], 0x38
	s_wait_xcnt 0x0
	s_lshl_b64 s[0:1], s[16:17], 3
	v_mul_u64_e32 v[0:1], s[18:19], v[4:5]
	v_mul_u64_e32 v[2:3], s[22:23], v[4:5]
	v_cmp_gt_i64_e32 vcc_lo, s[8:9], v[4:5]
	s_lshl_b64 s[8:9], s[20:21], 3
	s_and_b32 s12, s12, vcc_lo
	s_branch .LBB95_3
.LBB95_2:                               ;   in Loop: Header=BB95_3 Depth=1
	s_wait_xcnt 0x0
	s_or_b32 exec_lo, exec_lo, s13
	s_add_co_i32 s11, s11, 0x10000
	s_delay_alu instid0(SALU_CYCLE_1)
	s_cmp_lt_u32 s11, s10
	s_cbranch_scc0 .LBB95_5
.LBB95_3:                               ; =>This Inner Loop Header: Depth=1
	s_and_saveexec_b32 s13, s12
	s_cbranch_execz .LBB95_2
; %bb.4:                                ;   in Loop: Header=BB95_3 Depth=1
	s_wait_kmcnt 0x0
	s_load_b64 s[14:15], s[6:7], s11 offset:0x0 scale_offset
	s_load_b64 s[16:17], s[4:5], s11 offset:0x0 scale_offset
	s_wait_kmcnt 0x0
	s_add_nc_u64 s[14:15], s[14:15], s[8:9]
	s_add_nc_u64 s[16:17], s[16:17], s[0:1]
	s_delay_alu instid0(VALU_DEP_2) | instskip(NEXT) | instid1(VALU_DEP_4)
	v_lshl_add_u64 v[4:5], v[2:3], 3, s[14:15]
	v_lshl_add_u64 v[6:7], v[0:1], 3, s[16:17]
	flat_load_b64 v[8:9], v[4:5]
	flat_load_b64 v[10:11], v[6:7]
	s_wait_loadcnt_dscnt 0x0
	v_fmac_f64_e32 v[8:9], s[2:3], v[10:11]
	flat_store_b64 v[4:5], v[8:9]
	s_branch .LBB95_2
.LBB95_5:
	s_endpgm
	.section	.rodata,"a",@progbits
	.p2align	6, 0x0
	.amdhsa_kernel _ZL19rocblas_axpy_kernelIlLi256EddPKPKdPKPdEviT2_lT3_lT_lT4_lS9_li
		.amdhsa_group_segment_fixed_size 0
		.amdhsa_private_segment_fixed_size 0
		.amdhsa_kernarg_size 92
		.amdhsa_user_sgpr_count 2
		.amdhsa_user_sgpr_dispatch_ptr 0
		.amdhsa_user_sgpr_queue_ptr 0
		.amdhsa_user_sgpr_kernarg_segment_ptr 1
		.amdhsa_user_sgpr_dispatch_id 0
		.amdhsa_user_sgpr_kernarg_preload_length 0
		.amdhsa_user_sgpr_kernarg_preload_offset 0
		.amdhsa_user_sgpr_private_segment_size 0
		.amdhsa_wavefront_size32 1
		.amdhsa_uses_dynamic_stack 0
		.amdhsa_enable_private_segment 0
		.amdhsa_system_sgpr_workgroup_id_x 1
		.amdhsa_system_sgpr_workgroup_id_y 0
		.amdhsa_system_sgpr_workgroup_id_z 1
		.amdhsa_system_sgpr_workgroup_info 0
		.amdhsa_system_vgpr_workitem_id 0
		.amdhsa_next_free_vgpr 12
		.amdhsa_next_free_sgpr 24
		.amdhsa_named_barrier_count 0
		.amdhsa_reserve_vcc 1
		.amdhsa_float_round_mode_32 0
		.amdhsa_float_round_mode_16_64 0
		.amdhsa_float_denorm_mode_32 3
		.amdhsa_float_denorm_mode_16_64 3
		.amdhsa_fp16_overflow 0
		.amdhsa_memory_ordered 1
		.amdhsa_forward_progress 1
		.amdhsa_inst_pref_size 3
		.amdhsa_round_robin_scheduling 0
		.amdhsa_exception_fp_ieee_invalid_op 0
		.amdhsa_exception_fp_denorm_src 0
		.amdhsa_exception_fp_ieee_div_zero 0
		.amdhsa_exception_fp_ieee_overflow 0
		.amdhsa_exception_fp_ieee_underflow 0
		.amdhsa_exception_fp_ieee_inexact 0
		.amdhsa_exception_int_div_zero 0
	.end_amdhsa_kernel
	.section	.text._ZL19rocblas_axpy_kernelIlLi256EddPKPKdPKPdEviT2_lT3_lT_lT4_lS9_li,"axG",@progbits,_ZL19rocblas_axpy_kernelIlLi256EddPKPKdPKPdEviT2_lT3_lT_lT4_lS9_li,comdat
.Lfunc_end95:
	.size	_ZL19rocblas_axpy_kernelIlLi256EddPKPKdPKPdEviT2_lT3_lT_lT4_lS9_li, .Lfunc_end95-_ZL19rocblas_axpy_kernelIlLi256EddPKPKdPKPdEviT2_lT3_lT_lT4_lS9_li
                                        ; -- End function
	.set _ZL19rocblas_axpy_kernelIlLi256EddPKPKdPKPdEviT2_lT3_lT_lT4_lS9_li.num_vgpr, 12
	.set _ZL19rocblas_axpy_kernelIlLi256EddPKPKdPKPdEviT2_lT3_lT_lT4_lS9_li.num_agpr, 0
	.set _ZL19rocblas_axpy_kernelIlLi256EddPKPKdPKPdEviT2_lT3_lT_lT4_lS9_li.numbered_sgpr, 24
	.set _ZL19rocblas_axpy_kernelIlLi256EddPKPKdPKPdEviT2_lT3_lT_lT4_lS9_li.num_named_barrier, 0
	.set _ZL19rocblas_axpy_kernelIlLi256EddPKPKdPKPdEviT2_lT3_lT_lT4_lS9_li.private_seg_size, 0
	.set _ZL19rocblas_axpy_kernelIlLi256EddPKPKdPKPdEviT2_lT3_lT_lT4_lS9_li.uses_vcc, 1
	.set _ZL19rocblas_axpy_kernelIlLi256EddPKPKdPKPdEviT2_lT3_lT_lT4_lS9_li.uses_flat_scratch, 0
	.set _ZL19rocblas_axpy_kernelIlLi256EddPKPKdPKPdEviT2_lT3_lT_lT4_lS9_li.has_dyn_sized_stack, 0
	.set _ZL19rocblas_axpy_kernelIlLi256EddPKPKdPKPdEviT2_lT3_lT_lT4_lS9_li.has_recursion, 0
	.set _ZL19rocblas_axpy_kernelIlLi256EddPKPKdPKPdEviT2_lT3_lT_lT4_lS9_li.has_indirect_call, 0
	.section	.AMDGPU.csdata,"",@progbits
; Kernel info:
; codeLenInByte = 360
; TotalNumSgprs: 26
; NumVgprs: 12
; ScratchSize: 0
; MemoryBound: 0
; FloatMode: 240
; IeeeMode: 1
; LDSByteSize: 0 bytes/workgroup (compile time only)
; SGPRBlocks: 0
; VGPRBlocks: 0
; NumSGPRsForWavesPerEU: 26
; NumVGPRsForWavesPerEU: 12
; NamedBarCnt: 0
; Occupancy: 16
; WaveLimiterHint : 1
; COMPUTE_PGM_RSRC2:SCRATCH_EN: 0
; COMPUTE_PGM_RSRC2:USER_SGPR: 2
; COMPUTE_PGM_RSRC2:TRAP_HANDLER: 0
; COMPUTE_PGM_RSRC2:TGID_X_EN: 1
; COMPUTE_PGM_RSRC2:TGID_Y_EN: 0
; COMPUTE_PGM_RSRC2:TGID_Z_EN: 1
; COMPUTE_PGM_RSRC2:TIDIG_COMP_CNT: 0
	.section	.text._ZL26rocblas_haxpy_mlt_8_kernelILi256EPKDF16_PKPK19rocblas_complex_numIfEPKPS3_EviT0_lT1_llT2_lli,"axG",@progbits,_ZL26rocblas_haxpy_mlt_8_kernelILi256EPKDF16_PKPK19rocblas_complex_numIfEPKPS3_EviT0_lT1_llT2_lli,comdat
	.globl	_ZL26rocblas_haxpy_mlt_8_kernelILi256EPKDF16_PKPK19rocblas_complex_numIfEPKPS3_EviT0_lT1_llT2_lli ; -- Begin function _ZL26rocblas_haxpy_mlt_8_kernelILi256EPKDF16_PKPK19rocblas_complex_numIfEPKPS3_EviT0_lT1_llT2_lli
	.p2align	8
	.type	_ZL26rocblas_haxpy_mlt_8_kernelILi256EPKDF16_PKPK19rocblas_complex_numIfEPKPS3_EviT0_lT1_llT2_lli,@function
_ZL26rocblas_haxpy_mlt_8_kernelILi256EPKDF16_PKPK19rocblas_complex_numIfEPKPS3_EviT0_lT1_llT2_lli: ; @_ZL26rocblas_haxpy_mlt_8_kernelILi256EPKDF16_PKPK19rocblas_complex_numIfEPKPS3_EviT0_lT1_llT2_lli
; %bb.0:
	s_load_b32 s14, s[0:1], 0x48
	s_bfe_u32 s2, ttmp6, 0x40014
	s_lshr_b32 s3, ttmp7, 16
	s_add_co_i32 s2, s2, 1
	s_bfe_u32 s5, ttmp6, 0x40008
	s_mul_i32 s4, s3, s2
	s_getreg_b32 s2, hwreg(HW_REG_IB_STS2, 6, 4)
	s_add_co_i32 s5, s5, s4
	s_cmp_eq_u32 s2, 0
	s_mov_b32 s13, 0
	s_cselect_b32 s12, s3, s5
	s_wait_kmcnt 0x0
	s_cmp_ge_u32 s12, s14
	s_cbranch_scc1 .LBB96_5
; %bb.1:
	s_load_b32 s16, s[0:1], 0x0
	s_bfe_u32 s3, ttmp6, 0x4000c
	s_and_b32 s15, ttmp6, 15
	s_add_co_i32 s3, s3, 1
	s_load_b256 s[4:11], s[0:1], 0x8
	s_mul_i32 s3, ttmp9, s3
	v_mov_b32_e32 v1, 0
	s_add_co_i32 s15, s15, s3
	s_wait_kmcnt 0x0
	s_ashr_i32 s17, s16, 31
	s_cmp_eq_u32 s2, 0
	s_load_b128 s[0:3], s[0:1], 0x30
	s_cselect_b32 s15, ttmp9, s15
	s_lshl_b64 s[10:11], s[10:11], 3
	v_lshl_or_b32 v0, s15, 8, v0
	s_delay_alu instid0(VALU_DEP_1) | instskip(NEXT) | instid1(VALU_DEP_1)
	v_lshlrev_b64_e32 v[2:3], 3, v[0:1]
	v_cmp_le_i64_e32 vcc_lo, s[16:17], v[2:3]
	v_lshlrev_b64_e32 v[2:3], 3, v[2:3]
	s_wait_kmcnt 0x0
	s_lshl_b64 s[2:3], s[2:3], 3
	s_xor_b32 s15, vcc_lo, -1
	s_branch .LBB96_3
.LBB96_2:                               ;   in Loop: Header=BB96_3 Depth=1
	s_wait_xcnt 0x0
	s_or_b32 exec_lo, exec_lo, s16
	s_add_co_i32 s12, s12, 0x10000
	s_delay_alu instid0(SALU_CYCLE_1)
	s_cmp_lt_u32 s12, s14
	s_cbranch_scc0 .LBB96_5
.LBB96_3:                               ; =>This Inner Loop Header: Depth=1
	s_mul_u64 s[16:17], s[6:7], s[12:13]
	s_delay_alu instid0(SALU_CYCLE_1) | instskip(NEXT) | instid1(SALU_CYCLE_1)
	s_lshl_b64 s[16:17], s[16:17], 1
	s_add_nc_u64 s[16:17], s[4:5], s[16:17]
	global_load_u16 v0, v1, s[16:17]
	s_wait_loadcnt 0x0
	s_wait_xcnt 0x0
	v_readfirstlane_b32 s16, v0
	s_pack_ll_b32_b16 s16, s16, s16
	s_delay_alu instid0(SALU_CYCLE_1) | instskip(NEXT) | instid1(SALU_CYCLE_1)
	s_and_b32 s16, s16, 0x7fff
	s_cmp_lg_u32 s16, 0
	s_cselect_b32 s16, -1, 0
	s_delay_alu instid0(SALU_CYCLE_1) | instskip(NEXT) | instid1(SALU_CYCLE_1)
	s_and_b32 s17, s16, s15
	s_and_saveexec_b32 s16, s17
	s_cbranch_execz .LBB96_2
; %bb.4:                                ;   in Loop: Header=BB96_3 Depth=1
	s_lshl_b64 s[18:19], s[12:13], 3
	s_delay_alu instid0(SALU_CYCLE_1)
	s_add_nc_u64 s[20:21], s[0:1], s[18:19]
	s_add_nc_u64 s[18:19], s[8:9], s[18:19]
	s_clause 0x1
	global_load_b64 v[4:5], v1, s[20:21]
	global_load_b64 v[6:7], v1, s[18:19]
	s_wait_loadcnt 0x1
	v_add_nc_u64_e32 v[4:5], s[2:3], v[4:5]
	s_wait_loadcnt 0x0
	v_add_nc_u64_e32 v[6:7], s[10:11], v[6:7]
	s_delay_alu instid0(VALU_DEP_2) | instskip(NEXT) | instid1(VALU_DEP_2)
	v_add_nc_u64_e32 v[12:13], v[4:5], v[2:3]
	v_add_nc_u64_e32 v[14:15], v[6:7], v[2:3]
	flat_load_b128 v[4:7], v[12:13]
	flat_load_b128 v[8:11], v[14:15]
	s_wait_loadcnt_dscnt 0x0
	v_pk_fma_f16 v7, v0, v11, v7 op_sel_hi:[0,1,1]
	v_pk_fma_f16 v6, v0, v10, v6 op_sel_hi:[0,1,1]
	;; [unrolled: 1-line block ×4, first 2 shown]
	flat_store_b128 v[12:13], v[4:7]
	s_branch .LBB96_2
.LBB96_5:
	s_endpgm
	.section	.rodata,"a",@progbits
	.p2align	6, 0x0
	.amdhsa_kernel _ZL26rocblas_haxpy_mlt_8_kernelILi256EPKDF16_PKPK19rocblas_complex_numIfEPKPS3_EviT0_lT1_llT2_lli
		.amdhsa_group_segment_fixed_size 0
		.amdhsa_private_segment_fixed_size 0
		.amdhsa_kernarg_size 76
		.amdhsa_user_sgpr_count 2
		.amdhsa_user_sgpr_dispatch_ptr 0
		.amdhsa_user_sgpr_queue_ptr 0
		.amdhsa_user_sgpr_kernarg_segment_ptr 1
		.amdhsa_user_sgpr_dispatch_id 0
		.amdhsa_user_sgpr_kernarg_preload_length 0
		.amdhsa_user_sgpr_kernarg_preload_offset 0
		.amdhsa_user_sgpr_private_segment_size 0
		.amdhsa_wavefront_size32 1
		.amdhsa_uses_dynamic_stack 0
		.amdhsa_enable_private_segment 0
		.amdhsa_system_sgpr_workgroup_id_x 1
		.amdhsa_system_sgpr_workgroup_id_y 0
		.amdhsa_system_sgpr_workgroup_id_z 1
		.amdhsa_system_sgpr_workgroup_info 0
		.amdhsa_system_vgpr_workitem_id 0
		.amdhsa_next_free_vgpr 16
		.amdhsa_next_free_sgpr 22
		.amdhsa_named_barrier_count 0
		.amdhsa_reserve_vcc 1
		.amdhsa_float_round_mode_32 0
		.amdhsa_float_round_mode_16_64 0
		.amdhsa_float_denorm_mode_32 3
		.amdhsa_float_denorm_mode_16_64 3
		.amdhsa_fp16_overflow 0
		.amdhsa_memory_ordered 1
		.amdhsa_forward_progress 1
		.amdhsa_inst_pref_size 4
		.amdhsa_round_robin_scheduling 0
		.amdhsa_exception_fp_ieee_invalid_op 0
		.amdhsa_exception_fp_denorm_src 0
		.amdhsa_exception_fp_ieee_div_zero 0
		.amdhsa_exception_fp_ieee_overflow 0
		.amdhsa_exception_fp_ieee_underflow 0
		.amdhsa_exception_fp_ieee_inexact 0
		.amdhsa_exception_int_div_zero 0
	.end_amdhsa_kernel
	.section	.text._ZL26rocblas_haxpy_mlt_8_kernelILi256EPKDF16_PKPK19rocblas_complex_numIfEPKPS3_EviT0_lT1_llT2_lli,"axG",@progbits,_ZL26rocblas_haxpy_mlt_8_kernelILi256EPKDF16_PKPK19rocblas_complex_numIfEPKPS3_EviT0_lT1_llT2_lli,comdat
.Lfunc_end96:
	.size	_ZL26rocblas_haxpy_mlt_8_kernelILi256EPKDF16_PKPK19rocblas_complex_numIfEPKPS3_EviT0_lT1_llT2_lli, .Lfunc_end96-_ZL26rocblas_haxpy_mlt_8_kernelILi256EPKDF16_PKPK19rocblas_complex_numIfEPKPS3_EviT0_lT1_llT2_lli
                                        ; -- End function
	.set _ZL26rocblas_haxpy_mlt_8_kernelILi256EPKDF16_PKPK19rocblas_complex_numIfEPKPS3_EviT0_lT1_llT2_lli.num_vgpr, 16
	.set _ZL26rocblas_haxpy_mlt_8_kernelILi256EPKDF16_PKPK19rocblas_complex_numIfEPKPS3_EviT0_lT1_llT2_lli.num_agpr, 0
	.set _ZL26rocblas_haxpy_mlt_8_kernelILi256EPKDF16_PKPK19rocblas_complex_numIfEPKPS3_EviT0_lT1_llT2_lli.numbered_sgpr, 22
	.set _ZL26rocblas_haxpy_mlt_8_kernelILi256EPKDF16_PKPK19rocblas_complex_numIfEPKPS3_EviT0_lT1_llT2_lli.num_named_barrier, 0
	.set _ZL26rocblas_haxpy_mlt_8_kernelILi256EPKDF16_PKPK19rocblas_complex_numIfEPKPS3_EviT0_lT1_llT2_lli.private_seg_size, 0
	.set _ZL26rocblas_haxpy_mlt_8_kernelILi256EPKDF16_PKPK19rocblas_complex_numIfEPKPS3_EviT0_lT1_llT2_lli.uses_vcc, 1
	.set _ZL26rocblas_haxpy_mlt_8_kernelILi256EPKDF16_PKPK19rocblas_complex_numIfEPKPS3_EviT0_lT1_llT2_lli.uses_flat_scratch, 0
	.set _ZL26rocblas_haxpy_mlt_8_kernelILi256EPKDF16_PKPK19rocblas_complex_numIfEPKPS3_EviT0_lT1_llT2_lli.has_dyn_sized_stack, 0
	.set _ZL26rocblas_haxpy_mlt_8_kernelILi256EPKDF16_PKPK19rocblas_complex_numIfEPKPS3_EviT0_lT1_llT2_lli.has_recursion, 0
	.set _ZL26rocblas_haxpy_mlt_8_kernelILi256EPKDF16_PKPK19rocblas_complex_numIfEPKPS3_EviT0_lT1_llT2_lli.has_indirect_call, 0
	.section	.AMDGPU.csdata,"",@progbits
; Kernel info:
; codeLenInByte = 440
; TotalNumSgprs: 24
; NumVgprs: 16
; ScratchSize: 0
; MemoryBound: 1
; FloatMode: 240
; IeeeMode: 1
; LDSByteSize: 0 bytes/workgroup (compile time only)
; SGPRBlocks: 0
; VGPRBlocks: 0
; NumSGPRsForWavesPerEU: 24
; NumVGPRsForWavesPerEU: 16
; NamedBarCnt: 0
; Occupancy: 16
; WaveLimiterHint : 1
; COMPUTE_PGM_RSRC2:SCRATCH_EN: 0
; COMPUTE_PGM_RSRC2:USER_SGPR: 2
; COMPUTE_PGM_RSRC2:TRAP_HANDLER: 0
; COMPUTE_PGM_RSRC2:TGID_X_EN: 1
; COMPUTE_PGM_RSRC2:TGID_Y_EN: 0
; COMPUTE_PGM_RSRC2:TGID_Z_EN: 1
; COMPUTE_PGM_RSRC2:TIDIG_COMP_CNT: 0
	.section	.text._ZL26rocblas_haxpy_mod_8_kernelILi256EPK19rocblas_complex_numIfEPKS3_PKPS1_EviT0_lT1_llT2_lli,"axG",@progbits,_ZL26rocblas_haxpy_mod_8_kernelILi256EPK19rocblas_complex_numIfEPKS3_PKPS1_EviT0_lT1_llT2_lli,comdat
	.globl	_ZL26rocblas_haxpy_mod_8_kernelILi256EPK19rocblas_complex_numIfEPKS3_PKPS1_EviT0_lT1_llT2_lli ; -- Begin function _ZL26rocblas_haxpy_mod_8_kernelILi256EPK19rocblas_complex_numIfEPKS3_PKPS1_EviT0_lT1_llT2_lli
	.p2align	8
	.type	_ZL26rocblas_haxpy_mod_8_kernelILi256EPK19rocblas_complex_numIfEPKS3_PKPS1_EviT0_lT1_llT2_lli,@function
_ZL26rocblas_haxpy_mod_8_kernelILi256EPK19rocblas_complex_numIfEPKS3_PKPS1_EviT0_lT1_llT2_lli: ; @_ZL26rocblas_haxpy_mod_8_kernelILi256EPK19rocblas_complex_numIfEPKS3_PKPS1_EviT0_lT1_llT2_lli
; %bb.0:
	s_load_b32 s15, s[0:1], 0x48
	s_bfe_u32 s2, ttmp6, 0x40014
	s_lshr_b32 s3, ttmp7, 16
	s_add_co_i32 s2, s2, 1
	s_bfe_u32 s4, ttmp6, 0x40008
	s_mul_i32 s2, s3, s2
	s_getreg_b32 s14, hwreg(HW_REG_IB_STS2, 6, 4)
	s_add_co_i32 s4, s4, s2
	s_cmp_eq_u32 s14, 0
	s_mov_b32 s13, 0
	s_cselect_b32 s12, s3, s4
	s_wait_kmcnt 0x0
	s_cmp_ge_u32 s12, s15
	s_cbranch_scc1 .LBB97_5
; %bb.1:
	s_clause 0x1
	s_load_b32 s16, s[0:1], 0x0
	s_load_b256 s[4:11], s[0:1], 0x8
	s_bfe_u32 s17, ttmp6, 0x4000c
	s_wait_xcnt 0x0
	s_load_b128 s[0:3], s[0:1], 0x30
	s_add_co_i32 s17, s17, 1
	s_and_b32 s18, ttmp6, 15
	s_mul_i32 s17, ttmp9, s17
	v_mov_b32_e32 v1, 0
	s_add_co_i32 s18, s18, s17
	s_wait_kmcnt 0x0
	s_ashr_i32 s17, s16, 31
	s_cmp_eq_u32 s14, 0
	s_cselect_b32 s14, ttmp9, s18
	s_lshl_b64 s[10:11], s[10:11], 3
	v_lshl_or_b32 v0, s14, 8, v0
	s_lshl_b64 s[2:3], s[2:3], 3
	s_delay_alu instid0(VALU_DEP_1)
	v_lshlrev_b64_e32 v[2:3], 3, v[0:1]
	v_cmp_gt_i64_e32 vcc_lo, s[16:17], v[0:1]
	s_branch .LBB97_3
.LBB97_2:                               ;   in Loop: Header=BB97_3 Depth=1
	s_wait_xcnt 0x0
	s_or_b32 exec_lo, exec_lo, s17
	s_add_co_i32 s12, s12, 0x10000
	s_delay_alu instid0(SALU_CYCLE_1)
	s_cmp_lt_u32 s12, s15
	s_cbranch_scc0 .LBB97_5
.LBB97_3:                               ; =>This Inner Loop Header: Depth=1
	s_mul_u64 s[16:17], s[6:7], s[12:13]
	s_delay_alu instid0(SALU_CYCLE_1) | instskip(NEXT) | instid1(SALU_CYCLE_1)
	s_lshl_b64 s[16:17], s[16:17], 3
	s_add_nc_u64 s[16:17], s[4:5], s[16:17]
	global_load_b64 v[4:5], v1, s[16:17]
	s_wait_loadcnt 0x0
	v_readfirstlane_b32 s14, v4
	s_wait_xcnt 0x0
	v_readfirstlane_b32 s16, v5
	s_or_b32 s17, s14, s16
	s_delay_alu instid0(SALU_CYCLE_1) | instskip(NEXT) | instid1(SALU_CYCLE_1)
	s_bitset0_b32 s17, 31
	s_cmp_lg_u32 s17, 0
	s_cselect_b32 s17, -1, 0
	s_delay_alu instid0(SALU_CYCLE_1) | instskip(NEXT) | instid1(SALU_CYCLE_1)
	s_and_b32 s18, vcc_lo, s17
	s_and_saveexec_b32 s17, s18
	s_cbranch_execz .LBB97_2
; %bb.4:                                ;   in Loop: Header=BB97_3 Depth=1
	s_lshl_b64 s[18:19], s[12:13], 3
	s_delay_alu instid0(SALU_CYCLE_1)
	s_add_nc_u64 s[20:21], s[8:9], s[18:19]
	s_add_nc_u64 s[18:19], s[0:1], s[18:19]
	s_clause 0x1
	global_load_b64 v[4:5], v1, s[20:21]
	global_load_b64 v[6:7], v1, s[18:19]
	s_wait_loadcnt 0x1
	v_add_nc_u64_e32 v[4:5], s[10:11], v[4:5]
	s_wait_loadcnt 0x0
	v_add_nc_u64_e32 v[6:7], s[2:3], v[6:7]
	s_delay_alu instid0(VALU_DEP_2) | instskip(NEXT) | instid1(VALU_DEP_2)
	v_add_nc_u64_e32 v[4:5], v[4:5], v[2:3]
	v_add_nc_u64_e32 v[6:7], v[6:7], v[2:3]
	flat_load_b64 v[4:5], v[4:5]
	flat_load_b64 v[8:9], v[6:7]
	s_wait_loadcnt_dscnt 0x101
	v_pk_mul_f32 v[10:11], v[4:5], s[16:17] op_sel:[1,0] op_sel_hi:[0,0]
	s_delay_alu instid0(VALU_DEP_1) | instskip(SKIP_2) | instid1(VALU_DEP_1)
	v_pk_fma_f32 v[12:13], v[4:5], s[14:15], v[10:11] op_sel_hi:[1,0,1]
	v_mov_b32_e32 v0, s14
	s_wait_xcnt 0x1
	v_pk_fma_f32 v[4:5], v[4:5], v[0:1], v[10:11] neg_lo:[0,0,1] neg_hi:[0,0,1]
	s_delay_alu instid0(VALU_DEP_3) | instskip(SKIP_1) | instid1(VALU_DEP_1)
	v_mov_b32_e32 v5, v13
	s_wait_loadcnt_dscnt 0x0
	v_pk_add_f32 v[4:5], v[8:9], v[4:5]
	flat_store_b64 v[6:7], v[4:5]
	s_branch .LBB97_2
.LBB97_5:
	s_endpgm
	.section	.rodata,"a",@progbits
	.p2align	6, 0x0
	.amdhsa_kernel _ZL26rocblas_haxpy_mod_8_kernelILi256EPK19rocblas_complex_numIfEPKS3_PKPS1_EviT0_lT1_llT2_lli
		.amdhsa_group_segment_fixed_size 0
		.amdhsa_private_segment_fixed_size 0
		.amdhsa_kernarg_size 76
		.amdhsa_user_sgpr_count 2
		.amdhsa_user_sgpr_dispatch_ptr 0
		.amdhsa_user_sgpr_queue_ptr 0
		.amdhsa_user_sgpr_kernarg_segment_ptr 1
		.amdhsa_user_sgpr_dispatch_id 0
		.amdhsa_user_sgpr_kernarg_preload_length 0
		.amdhsa_user_sgpr_kernarg_preload_offset 0
		.amdhsa_user_sgpr_private_segment_size 0
		.amdhsa_wavefront_size32 1
		.amdhsa_uses_dynamic_stack 0
		.amdhsa_enable_private_segment 0
		.amdhsa_system_sgpr_workgroup_id_x 1
		.amdhsa_system_sgpr_workgroup_id_y 0
		.amdhsa_system_sgpr_workgroup_id_z 1
		.amdhsa_system_sgpr_workgroup_info 0
		.amdhsa_system_vgpr_workitem_id 0
		.amdhsa_next_free_vgpr 14
		.amdhsa_next_free_sgpr 22
		.amdhsa_named_barrier_count 0
		.amdhsa_reserve_vcc 1
		.amdhsa_float_round_mode_32 0
		.amdhsa_float_round_mode_16_64 0
		.amdhsa_float_denorm_mode_32 3
		.amdhsa_float_denorm_mode_16_64 3
		.amdhsa_fp16_overflow 0
		.amdhsa_memory_ordered 1
		.amdhsa_forward_progress 1
		.amdhsa_inst_pref_size 4
		.amdhsa_round_robin_scheduling 0
		.amdhsa_exception_fp_ieee_invalid_op 0
		.amdhsa_exception_fp_denorm_src 0
		.amdhsa_exception_fp_ieee_div_zero 0
		.amdhsa_exception_fp_ieee_overflow 0
		.amdhsa_exception_fp_ieee_underflow 0
		.amdhsa_exception_fp_ieee_inexact 0
		.amdhsa_exception_int_div_zero 0
	.end_amdhsa_kernel
	.section	.text._ZL26rocblas_haxpy_mod_8_kernelILi256EPK19rocblas_complex_numIfEPKS3_PKPS1_EviT0_lT1_llT2_lli,"axG",@progbits,_ZL26rocblas_haxpy_mod_8_kernelILi256EPK19rocblas_complex_numIfEPKS3_PKPS1_EviT0_lT1_llT2_lli,comdat
.Lfunc_end97:
	.size	_ZL26rocblas_haxpy_mod_8_kernelILi256EPK19rocblas_complex_numIfEPKS3_PKPS1_EviT0_lT1_llT2_lli, .Lfunc_end97-_ZL26rocblas_haxpy_mod_8_kernelILi256EPK19rocblas_complex_numIfEPKS3_PKPS1_EviT0_lT1_llT2_lli
                                        ; -- End function
	.set _ZL26rocblas_haxpy_mod_8_kernelILi256EPK19rocblas_complex_numIfEPKS3_PKPS1_EviT0_lT1_llT2_lli.num_vgpr, 14
	.set _ZL26rocblas_haxpy_mod_8_kernelILi256EPK19rocblas_complex_numIfEPKS3_PKPS1_EviT0_lT1_llT2_lli.num_agpr, 0
	.set _ZL26rocblas_haxpy_mod_8_kernelILi256EPK19rocblas_complex_numIfEPKS3_PKPS1_EviT0_lT1_llT2_lli.numbered_sgpr, 22
	.set _ZL26rocblas_haxpy_mod_8_kernelILi256EPK19rocblas_complex_numIfEPKS3_PKPS1_EviT0_lT1_llT2_lli.num_named_barrier, 0
	.set _ZL26rocblas_haxpy_mod_8_kernelILi256EPK19rocblas_complex_numIfEPKS3_PKPS1_EviT0_lT1_llT2_lli.private_seg_size, 0
	.set _ZL26rocblas_haxpy_mod_8_kernelILi256EPK19rocblas_complex_numIfEPKS3_PKPS1_EviT0_lT1_llT2_lli.uses_vcc, 1
	.set _ZL26rocblas_haxpy_mod_8_kernelILi256EPK19rocblas_complex_numIfEPKS3_PKPS1_EviT0_lT1_llT2_lli.uses_flat_scratch, 0
	.set _ZL26rocblas_haxpy_mod_8_kernelILi256EPK19rocblas_complex_numIfEPKS3_PKPS1_EviT0_lT1_llT2_lli.has_dyn_sized_stack, 0
	.set _ZL26rocblas_haxpy_mod_8_kernelILi256EPK19rocblas_complex_numIfEPKS3_PKPS1_EviT0_lT1_llT2_lli.has_recursion, 0
	.set _ZL26rocblas_haxpy_mod_8_kernelILi256EPK19rocblas_complex_numIfEPKS3_PKPS1_EviT0_lT1_llT2_lli.has_indirect_call, 0
	.section	.AMDGPU.csdata,"",@progbits
; Kernel info:
; codeLenInByte = 460
; TotalNumSgprs: 24
; NumVgprs: 14
; ScratchSize: 0
; MemoryBound: 0
; FloatMode: 240
; IeeeMode: 1
; LDSByteSize: 0 bytes/workgroup (compile time only)
; SGPRBlocks: 0
; VGPRBlocks: 0
; NumSGPRsForWavesPerEU: 24
; NumVGPRsForWavesPerEU: 14
; NamedBarCnt: 0
; Occupancy: 16
; WaveLimiterHint : 1
; COMPUTE_PGM_RSRC2:SCRATCH_EN: 0
; COMPUTE_PGM_RSRC2:USER_SGPR: 2
; COMPUTE_PGM_RSRC2:TRAP_HANDLER: 0
; COMPUTE_PGM_RSRC2:TGID_X_EN: 1
; COMPUTE_PGM_RSRC2:TGID_Y_EN: 0
; COMPUTE_PGM_RSRC2:TGID_Z_EN: 1
; COMPUTE_PGM_RSRC2:TIDIG_COMP_CNT: 0
	.section	.text._ZL26rocblas_haxpy_mlt_8_kernelILi256EDF16_PKPK19rocblas_complex_numIfEPKPS1_EviT0_lT1_llT2_lli,"axG",@progbits,_ZL26rocblas_haxpy_mlt_8_kernelILi256EDF16_PKPK19rocblas_complex_numIfEPKPS1_EviT0_lT1_llT2_lli,comdat
	.globl	_ZL26rocblas_haxpy_mlt_8_kernelILi256EDF16_PKPK19rocblas_complex_numIfEPKPS1_EviT0_lT1_llT2_lli ; -- Begin function _ZL26rocblas_haxpy_mlt_8_kernelILi256EDF16_PKPK19rocblas_complex_numIfEPKPS1_EviT0_lT1_llT2_lli
	.p2align	8
	.type	_ZL26rocblas_haxpy_mlt_8_kernelILi256EDF16_PKPK19rocblas_complex_numIfEPKPS1_EviT0_lT1_llT2_lli,@function
_ZL26rocblas_haxpy_mlt_8_kernelILi256EDF16_PKPK19rocblas_complex_numIfEPKPS1_EviT0_lT1_llT2_lli: ; @_ZL26rocblas_haxpy_mlt_8_kernelILi256EDF16_PKPK19rocblas_complex_numIfEPKPS1_EviT0_lT1_llT2_lli
; %bb.0:
	s_load_b32 s12, s[0:1], 0x40
	s_bfe_u32 s2, ttmp6, 0x40014
	s_lshr_b32 s3, ttmp7, 16
	s_add_co_i32 s2, s2, 1
	s_bfe_u32 s5, ttmp6, 0x40008
	s_mul_i32 s4, s3, s2
	s_getreg_b32 s2, hwreg(HW_REG_IB_STS2, 6, 4)
	s_add_co_i32 s5, s5, s4
	s_cmp_eq_u32 s2, 0
	s_cselect_b32 s13, s3, s5
	s_wait_kmcnt 0x0
	s_cmp_ge_u32 s13, s12
	s_cbranch_scc1 .LBB98_5
; %bb.1:
	s_load_b64 s[16:17], s[0:1], 0x0
	s_bfe_u32 s3, ttmp6, 0x4000c
	s_and_b32 s4, ttmp6, 15
	s_add_co_i32 s3, s3, 1
	s_load_b128 s[8:11], s[0:1], 0x28
	s_mul_i32 s3, ttmp9, s3
	v_mov_b32_e32 v1, 0
	s_add_co_i32 s3, s4, s3
	s_cmp_eq_u32 s2, 0
	s_load_b128 s[4:7], s[0:1], 0x10
	s_cselect_b32 s2, ttmp9, s3
	s_delay_alu instid0(SALU_CYCLE_1) | instskip(NEXT) | instid1(VALU_DEP_1)
	v_lshl_or_b32 v0, s2, 8, v0
	v_lshlrev_b64_e32 v[0:1], 3, v[0:1]
	s_wait_kmcnt 0x0
	s_pack_ll_b32_b16 s14, s17, s17
	s_delay_alu instid0(SALU_CYCLE_1) | instskip(SKIP_4) | instid1(SALU_CYCLE_1)
	s_and_b32 s0, s14, 0x7fff
	s_mov_b32 s15, s14
	s_cmp_lg_u32 s0, 0
	s_cselect_b32 s2, -1, 0
	s_ashr_i32 s17, s16, 31
	v_cmp_gt_i64_e32 vcc_lo, s[16:17], v[0:1]
	v_lshlrev_b64_e32 v[0:1], 3, v[0:1]
	s_mov_b32 s16, s14
	s_mov_b32 s17, s14
	s_lshl_b64 s[0:1], s[6:7], 3
	s_and_b32 s6, s2, vcc_lo
	s_lshl_b64 s[2:3], s[10:11], 3
	s_branch .LBB98_3
.LBB98_2:                               ;   in Loop: Header=BB98_3 Depth=1
	s_wait_xcnt 0x0
	s_or_b32 exec_lo, exec_lo, s7
	s_add_co_i32 s13, s13, 0x10000
	s_delay_alu instid0(SALU_CYCLE_1)
	s_cmp_lt_u32 s13, s12
	s_cbranch_scc0 .LBB98_5
.LBB98_3:                               ; =>This Inner Loop Header: Depth=1
	s_and_saveexec_b32 s7, s6
	s_cbranch_execz .LBB98_2
; %bb.4:                                ;   in Loop: Header=BB98_3 Depth=1
	v_mov_b32_e32 v6, s13
	s_clause 0x1
	global_load_b64 v[2:3], v6, s[8:9] scale_offset
	global_load_b64 v[4:5], v6, s[4:5] scale_offset
	s_wait_loadcnt 0x1
	v_add_nc_u64_e32 v[2:3], s[2:3], v[2:3]
	s_wait_loadcnt 0x0
	v_add_nc_u64_e32 v[4:5], s[0:1], v[4:5]
	s_delay_alu instid0(VALU_DEP_2) | instskip(NEXT) | instid1(VALU_DEP_2)
	v_add_nc_u64_e32 v[10:11], v[2:3], v[0:1]
	v_add_nc_u64_e32 v[12:13], v[4:5], v[0:1]
	flat_load_b128 v[2:5], v[10:11]
	flat_load_b128 v[6:9], v[12:13]
	s_wait_loadcnt_dscnt 0x0
	v_pk_fma_f16 v5, s17, v9, v5
	v_pk_fma_f16 v4, s16, v8, v4
	;; [unrolled: 1-line block ×4, first 2 shown]
	flat_store_b128 v[10:11], v[2:5]
	s_branch .LBB98_2
.LBB98_5:
	s_endpgm
	.section	.rodata,"a",@progbits
	.p2align	6, 0x0
	.amdhsa_kernel _ZL26rocblas_haxpy_mlt_8_kernelILi256EDF16_PKPK19rocblas_complex_numIfEPKPS1_EviT0_lT1_llT2_lli
		.amdhsa_group_segment_fixed_size 0
		.amdhsa_private_segment_fixed_size 0
		.amdhsa_kernarg_size 68
		.amdhsa_user_sgpr_count 2
		.amdhsa_user_sgpr_dispatch_ptr 0
		.amdhsa_user_sgpr_queue_ptr 0
		.amdhsa_user_sgpr_kernarg_segment_ptr 1
		.amdhsa_user_sgpr_dispatch_id 0
		.amdhsa_user_sgpr_kernarg_preload_length 0
		.amdhsa_user_sgpr_kernarg_preload_offset 0
		.amdhsa_user_sgpr_private_segment_size 0
		.amdhsa_wavefront_size32 1
		.amdhsa_uses_dynamic_stack 0
		.amdhsa_enable_private_segment 0
		.amdhsa_system_sgpr_workgroup_id_x 1
		.amdhsa_system_sgpr_workgroup_id_y 0
		.amdhsa_system_sgpr_workgroup_id_z 1
		.amdhsa_system_sgpr_workgroup_info 0
		.amdhsa_system_vgpr_workitem_id 0
		.amdhsa_next_free_vgpr 14
		.amdhsa_next_free_sgpr 18
		.amdhsa_named_barrier_count 0
		.amdhsa_reserve_vcc 1
		.amdhsa_float_round_mode_32 0
		.amdhsa_float_round_mode_16_64 0
		.amdhsa_float_denorm_mode_32 3
		.amdhsa_float_denorm_mode_16_64 3
		.amdhsa_fp16_overflow 0
		.amdhsa_memory_ordered 1
		.amdhsa_forward_progress 1
		.amdhsa_inst_pref_size 3
		.amdhsa_round_robin_scheduling 0
		.amdhsa_exception_fp_ieee_invalid_op 0
		.amdhsa_exception_fp_denorm_src 0
		.amdhsa_exception_fp_ieee_div_zero 0
		.amdhsa_exception_fp_ieee_overflow 0
		.amdhsa_exception_fp_ieee_underflow 0
		.amdhsa_exception_fp_ieee_inexact 0
		.amdhsa_exception_int_div_zero 0
	.end_amdhsa_kernel
	.section	.text._ZL26rocblas_haxpy_mlt_8_kernelILi256EDF16_PKPK19rocblas_complex_numIfEPKPS1_EviT0_lT1_llT2_lli,"axG",@progbits,_ZL26rocblas_haxpy_mlt_8_kernelILi256EDF16_PKPK19rocblas_complex_numIfEPKPS1_EviT0_lT1_llT2_lli,comdat
.Lfunc_end98:
	.size	_ZL26rocblas_haxpy_mlt_8_kernelILi256EDF16_PKPK19rocblas_complex_numIfEPKPS1_EviT0_lT1_llT2_lli, .Lfunc_end98-_ZL26rocblas_haxpy_mlt_8_kernelILi256EDF16_PKPK19rocblas_complex_numIfEPKPS1_EviT0_lT1_llT2_lli
                                        ; -- End function
	.set _ZL26rocblas_haxpy_mlt_8_kernelILi256EDF16_PKPK19rocblas_complex_numIfEPKPS1_EviT0_lT1_llT2_lli.num_vgpr, 14
	.set _ZL26rocblas_haxpy_mlt_8_kernelILi256EDF16_PKPK19rocblas_complex_numIfEPKPS1_EviT0_lT1_llT2_lli.num_agpr, 0
	.set _ZL26rocblas_haxpy_mlt_8_kernelILi256EDF16_PKPK19rocblas_complex_numIfEPKPS1_EviT0_lT1_llT2_lli.numbered_sgpr, 18
	.set _ZL26rocblas_haxpy_mlt_8_kernelILi256EDF16_PKPK19rocblas_complex_numIfEPKPS1_EviT0_lT1_llT2_lli.num_named_barrier, 0
	.set _ZL26rocblas_haxpy_mlt_8_kernelILi256EDF16_PKPK19rocblas_complex_numIfEPKPS1_EviT0_lT1_llT2_lli.private_seg_size, 0
	.set _ZL26rocblas_haxpy_mlt_8_kernelILi256EDF16_PKPK19rocblas_complex_numIfEPKPS1_EviT0_lT1_llT2_lli.uses_vcc, 1
	.set _ZL26rocblas_haxpy_mlt_8_kernelILi256EDF16_PKPK19rocblas_complex_numIfEPKPS1_EviT0_lT1_llT2_lli.uses_flat_scratch, 0
	.set _ZL26rocblas_haxpy_mlt_8_kernelILi256EDF16_PKPK19rocblas_complex_numIfEPKPS1_EviT0_lT1_llT2_lli.has_dyn_sized_stack, 0
	.set _ZL26rocblas_haxpy_mlt_8_kernelILi256EDF16_PKPK19rocblas_complex_numIfEPKPS1_EviT0_lT1_llT2_lli.has_recursion, 0
	.set _ZL26rocblas_haxpy_mlt_8_kernelILi256EDF16_PKPK19rocblas_complex_numIfEPKPS1_EviT0_lT1_llT2_lli.has_indirect_call, 0
	.section	.AMDGPU.csdata,"",@progbits
; Kernel info:
; codeLenInByte = 384
; TotalNumSgprs: 20
; NumVgprs: 14
; ScratchSize: 0
; MemoryBound: 1
; FloatMode: 240
; IeeeMode: 1
; LDSByteSize: 0 bytes/workgroup (compile time only)
; SGPRBlocks: 0
; VGPRBlocks: 0
; NumSGPRsForWavesPerEU: 20
; NumVGPRsForWavesPerEU: 14
; NamedBarCnt: 0
; Occupancy: 16
; WaveLimiterHint : 1
; COMPUTE_PGM_RSRC2:SCRATCH_EN: 0
; COMPUTE_PGM_RSRC2:USER_SGPR: 2
; COMPUTE_PGM_RSRC2:TRAP_HANDLER: 0
; COMPUTE_PGM_RSRC2:TGID_X_EN: 1
; COMPUTE_PGM_RSRC2:TGID_Y_EN: 0
; COMPUTE_PGM_RSRC2:TGID_Z_EN: 1
; COMPUTE_PGM_RSRC2:TIDIG_COMP_CNT: 0
	.section	.text._ZL26rocblas_haxpy_mod_8_kernelILi256E19rocblas_complex_numIfEPKPKS1_PKPS1_EviT0_lT1_llT2_lli,"axG",@progbits,_ZL26rocblas_haxpy_mod_8_kernelILi256E19rocblas_complex_numIfEPKPKS1_PKPS1_EviT0_lT1_llT2_lli,comdat
	.globl	_ZL26rocblas_haxpy_mod_8_kernelILi256E19rocblas_complex_numIfEPKPKS1_PKPS1_EviT0_lT1_llT2_lli ; -- Begin function _ZL26rocblas_haxpy_mod_8_kernelILi256E19rocblas_complex_numIfEPKPKS1_PKPS1_EviT0_lT1_llT2_lli
	.p2align	8
	.type	_ZL26rocblas_haxpy_mod_8_kernelILi256E19rocblas_complex_numIfEPKPKS1_PKPS1_EviT0_lT1_llT2_lli,@function
_ZL26rocblas_haxpy_mod_8_kernelILi256E19rocblas_complex_numIfEPKPKS1_PKPS1_EviT0_lT1_llT2_lli: ; @_ZL26rocblas_haxpy_mod_8_kernelILi256E19rocblas_complex_numIfEPKPKS1_PKPS1_EviT0_lT1_llT2_lli
; %bb.0:
	s_load_b32 s12, s[0:1], 0x48
	s_bfe_u32 s2, ttmp6, 0x40014
	s_lshr_b32 s3, ttmp7, 16
	s_add_co_i32 s2, s2, 1
	s_bfe_u32 s4, ttmp6, 0x40008
	s_mul_i32 s2, s3, s2
	s_getreg_b32 s10, hwreg(HW_REG_IB_STS2, 6, 4)
	s_add_co_i32 s4, s4, s2
	s_cmp_eq_u32 s10, 0
	s_cselect_b32 s13, s3, s4
	s_wait_kmcnt 0x0
	s_cmp_ge_u32 s13, s12
	s_cbranch_scc1 .LBB99_5
; %bb.1:
	s_clause 0x1
	s_load_b32 s14, s[0:1], 0x0
	s_load_b64 s[8:9], s[0:1], 0x4
	s_bfe_u32 s2, ttmp6, 0x4000c
	s_load_b128 s[4:7], s[0:1], 0x18
	s_add_co_i32 s2, s2, 1
	s_and_b32 s11, ttmp6, 15
	s_mul_i32 s15, ttmp9, s2
	s_wait_xcnt 0x0
	s_load_b128 s[0:3], s[0:1], 0x30
	s_add_co_i32 s11, s11, s15
	v_mov_b32_e32 v1, 0
	s_wait_kmcnt 0x0
	s_ashr_i32 s15, s14, 31
	s_cmp_eq_u32 s10, 0
	s_cselect_b32 s10, ttmp9, s11
	s_or_b32 s11, s8, s9
	v_lshl_or_b32 v0, s10, 8, v0
	s_and_b32 s16, s11, 0x7fffffff
	s_mov_b32 s10, s8
	s_cmp_lg_u32 s16, 0
	s_mov_b32 s11, s8
	v_cmp_gt_i64_e32 vcc_lo, s[14:15], v[0:1]
	v_lshlrev_b64_e32 v[0:1], 3, v[0:1]
	s_cselect_b32 s14, -1, 0
	s_mov_b32 s8, s9
	s_lshl_b64 s[6:7], s[6:7], 3
	s_lshl_b64 s[2:3], s[2:3], 3
	s_and_b32 s14, vcc_lo, s14
	s_branch .LBB99_3
.LBB99_2:                               ;   in Loop: Header=BB99_3 Depth=1
	s_wait_xcnt 0x0
	s_or_b32 exec_lo, exec_lo, s15
	s_add_co_i32 s13, s13, 0x10000
	s_delay_alu instid0(SALU_CYCLE_1)
	s_cmp_lt_u32 s13, s12
	s_cbranch_scc0 .LBB99_5
.LBB99_3:                               ; =>This Inner Loop Header: Depth=1
	s_and_saveexec_b32 s15, s14
	s_cbranch_execz .LBB99_2
; %bb.4:                                ;   in Loop: Header=BB99_3 Depth=1
	v_mov_b32_e32 v6, s13
	v_mov_b64_e32 v[8:9], s[8:9]
	v_mov_b64_e32 v[10:11], s[10:11]
	s_clause 0x1
	global_load_b64 v[2:3], v6, s[4:5] scale_offset
	global_load_b64 v[4:5], v6, s[0:1] scale_offset
	s_wait_loadcnt 0x1
	v_add_nc_u64_e32 v[2:3], s[6:7], v[2:3]
	s_wait_loadcnt 0x0
	v_add_nc_u64_e32 v[4:5], s[2:3], v[4:5]
	s_delay_alu instid0(VALU_DEP_2) | instskip(NEXT) | instid1(VALU_DEP_2)
	v_add_nc_u64_e32 v[2:3], v[2:3], v[0:1]
	v_add_nc_u64_e32 v[4:5], v[4:5], v[0:1]
	flat_load_b64 v[2:3], v[2:3]
	flat_load_b64 v[6:7], v[4:5]
	s_wait_loadcnt_dscnt 0x101
	v_pk_mul_f32 v[8:9], v[2:3], v[8:9] op_sel:[1,0] op_sel_hi:[0,1]
	s_delay_alu instid0(VALU_DEP_1) | instskip(SKIP_2) | instid1(VALU_DEP_2)
	v_pk_fma_f32 v[12:13], v[2:3], v[10:11], v[8:9]
	s_wait_xcnt 0x1
	v_pk_fma_f32 v[2:3], v[2:3], v[10:11], v[8:9] neg_lo:[0,0,1] neg_hi:[0,0,1]
	v_mov_b32_e32 v3, v13
	s_wait_loadcnt_dscnt 0x0
	s_delay_alu instid0(VALU_DEP_1)
	v_pk_add_f32 v[2:3], v[6:7], v[2:3]
	flat_store_b64 v[4:5], v[2:3]
	s_branch .LBB99_2
.LBB99_5:
	s_endpgm
	.section	.rodata,"a",@progbits
	.p2align	6, 0x0
	.amdhsa_kernel _ZL26rocblas_haxpy_mod_8_kernelILi256E19rocblas_complex_numIfEPKPKS1_PKPS1_EviT0_lT1_llT2_lli
		.amdhsa_group_segment_fixed_size 0
		.amdhsa_private_segment_fixed_size 0
		.amdhsa_kernarg_size 76
		.amdhsa_user_sgpr_count 2
		.amdhsa_user_sgpr_dispatch_ptr 0
		.amdhsa_user_sgpr_queue_ptr 0
		.amdhsa_user_sgpr_kernarg_segment_ptr 1
		.amdhsa_user_sgpr_dispatch_id 0
		.amdhsa_user_sgpr_kernarg_preload_length 0
		.amdhsa_user_sgpr_kernarg_preload_offset 0
		.amdhsa_user_sgpr_private_segment_size 0
		.amdhsa_wavefront_size32 1
		.amdhsa_uses_dynamic_stack 0
		.amdhsa_enable_private_segment 0
		.amdhsa_system_sgpr_workgroup_id_x 1
		.amdhsa_system_sgpr_workgroup_id_y 0
		.amdhsa_system_sgpr_workgroup_id_z 1
		.amdhsa_system_sgpr_workgroup_info 0
		.amdhsa_system_vgpr_workitem_id 0
		.amdhsa_next_free_vgpr 14
		.amdhsa_next_free_sgpr 17
		.amdhsa_named_barrier_count 0
		.amdhsa_reserve_vcc 1
		.amdhsa_float_round_mode_32 0
		.amdhsa_float_round_mode_16_64 0
		.amdhsa_float_denorm_mode_32 3
		.amdhsa_float_denorm_mode_16_64 3
		.amdhsa_fp16_overflow 0
		.amdhsa_memory_ordered 1
		.amdhsa_forward_progress 1
		.amdhsa_inst_pref_size 4
		.amdhsa_round_robin_scheduling 0
		.amdhsa_exception_fp_ieee_invalid_op 0
		.amdhsa_exception_fp_denorm_src 0
		.amdhsa_exception_fp_ieee_div_zero 0
		.amdhsa_exception_fp_ieee_overflow 0
		.amdhsa_exception_fp_ieee_underflow 0
		.amdhsa_exception_fp_ieee_inexact 0
		.amdhsa_exception_int_div_zero 0
	.end_amdhsa_kernel
	.section	.text._ZL26rocblas_haxpy_mod_8_kernelILi256E19rocblas_complex_numIfEPKPKS1_PKPS1_EviT0_lT1_llT2_lli,"axG",@progbits,_ZL26rocblas_haxpy_mod_8_kernelILi256E19rocblas_complex_numIfEPKPKS1_PKPS1_EviT0_lT1_llT2_lli,comdat
.Lfunc_end99:
	.size	_ZL26rocblas_haxpy_mod_8_kernelILi256E19rocblas_complex_numIfEPKPKS1_PKPS1_EviT0_lT1_llT2_lli, .Lfunc_end99-_ZL26rocblas_haxpy_mod_8_kernelILi256E19rocblas_complex_numIfEPKPKS1_PKPS1_EviT0_lT1_llT2_lli
                                        ; -- End function
	.set _ZL26rocblas_haxpy_mod_8_kernelILi256E19rocblas_complex_numIfEPKPKS1_PKPS1_EviT0_lT1_llT2_lli.num_vgpr, 14
	.set _ZL26rocblas_haxpy_mod_8_kernelILi256E19rocblas_complex_numIfEPKPKS1_PKPS1_EviT0_lT1_llT2_lli.num_agpr, 0
	.set _ZL26rocblas_haxpy_mod_8_kernelILi256E19rocblas_complex_numIfEPKPKS1_PKPS1_EviT0_lT1_llT2_lli.numbered_sgpr, 17
	.set _ZL26rocblas_haxpy_mod_8_kernelILi256E19rocblas_complex_numIfEPKPKS1_PKPS1_EviT0_lT1_llT2_lli.num_named_barrier, 0
	.set _ZL26rocblas_haxpy_mod_8_kernelILi256E19rocblas_complex_numIfEPKPKS1_PKPS1_EviT0_lT1_llT2_lli.private_seg_size, 0
	.set _ZL26rocblas_haxpy_mod_8_kernelILi256E19rocblas_complex_numIfEPKPKS1_PKPS1_EviT0_lT1_llT2_lli.uses_vcc, 1
	.set _ZL26rocblas_haxpy_mod_8_kernelILi256E19rocblas_complex_numIfEPKPKS1_PKPS1_EviT0_lT1_llT2_lli.uses_flat_scratch, 0
	.set _ZL26rocblas_haxpy_mod_8_kernelILi256E19rocblas_complex_numIfEPKPKS1_PKPS1_EviT0_lT1_llT2_lli.has_dyn_sized_stack, 0
	.set _ZL26rocblas_haxpy_mod_8_kernelILi256E19rocblas_complex_numIfEPKPKS1_PKPS1_EviT0_lT1_llT2_lli.has_recursion, 0
	.set _ZL26rocblas_haxpy_mod_8_kernelILi256E19rocblas_complex_numIfEPKPKS1_PKPS1_EviT0_lT1_llT2_lli.has_indirect_call, 0
	.section	.AMDGPU.csdata,"",@progbits
; Kernel info:
; codeLenInByte = 416
; TotalNumSgprs: 19
; NumVgprs: 14
; ScratchSize: 0
; MemoryBound: 0
; FloatMode: 240
; IeeeMode: 1
; LDSByteSize: 0 bytes/workgroup (compile time only)
; SGPRBlocks: 0
; VGPRBlocks: 0
; NumSGPRsForWavesPerEU: 19
; NumVGPRsForWavesPerEU: 14
; NamedBarCnt: 0
; Occupancy: 16
; WaveLimiterHint : 1
; COMPUTE_PGM_RSRC2:SCRATCH_EN: 0
; COMPUTE_PGM_RSRC2:USER_SGPR: 2
; COMPUTE_PGM_RSRC2:TRAP_HANDLER: 0
; COMPUTE_PGM_RSRC2:TGID_X_EN: 1
; COMPUTE_PGM_RSRC2:TGID_Y_EN: 0
; COMPUTE_PGM_RSRC2:TGID_Z_EN: 1
; COMPUTE_PGM_RSRC2:TIDIG_COMP_CNT: 0
	.section	.text._ZL22rocblas_saxpy_2_kernelILi256E19rocblas_complex_numIfEPKS1_PKS3_PKPS1_EviT1_lT2_llT3_lli,"axG",@progbits,_ZL22rocblas_saxpy_2_kernelILi256E19rocblas_complex_numIfEPKS1_PKS3_PKPS1_EviT1_lT2_llT3_lli,comdat
	.globl	_ZL22rocblas_saxpy_2_kernelILi256E19rocblas_complex_numIfEPKS1_PKS3_PKPS1_EviT1_lT2_llT3_lli ; -- Begin function _ZL22rocblas_saxpy_2_kernelILi256E19rocblas_complex_numIfEPKS1_PKS3_PKPS1_EviT1_lT2_llT3_lli
	.p2align	8
	.type	_ZL22rocblas_saxpy_2_kernelILi256E19rocblas_complex_numIfEPKS1_PKS3_PKPS1_EviT1_lT2_llT3_lli,@function
_ZL22rocblas_saxpy_2_kernelILi256E19rocblas_complex_numIfEPKS1_PKS3_PKPS1_EviT1_lT2_llT3_lli: ; @_ZL22rocblas_saxpy_2_kernelILi256E19rocblas_complex_numIfEPKS1_PKS3_PKPS1_EviT1_lT2_llT3_lli
; %bb.0:
	s_load_b32 s16, s[0:1], 0x48
	s_bfe_u32 s2, ttmp6, 0x40014
	s_lshr_b32 s3, ttmp7, 16
	s_add_co_i32 s2, s2, 1
	s_bfe_u32 s4, ttmp6, 0x40008
	s_mul_i32 s2, s3, s2
	s_getreg_b32 s17, hwreg(HW_REG_IB_STS2, 6, 4)
	s_add_co_i32 s4, s4, s2
	s_cmp_eq_u32 s17, 0
	s_cselect_b32 s2, s3, s4
	s_mov_b32 s3, 0
	s_wait_kmcnt 0x0
	s_cmp_ge_u32 s2, s16
	s_cbranch_scc1 .LBB100_9
; %bb.1:
	s_clause 0x1
	s_load_b32 s18, s[0:1], 0x0
	s_load_b256 s[4:11], s[0:1], 0x8
	s_bfe_u32 s19, ttmp6, 0x4000c
	s_load_b128 s[12:15], s[0:1], 0x30
	s_add_co_i32 s19, s19, 1
	s_wait_xcnt 0x0
	s_and_b32 s0, ttmp6, 15
	s_mul_i32 s1, ttmp9, s19
	v_dual_mov_b32 v1, 0 :: v_dual_lshlrev_b32 v0, 1, v0
	s_add_co_i32 s0, s0, s1
	s_cmp_eq_u32 s17, 0
	s_cselect_b32 s0, ttmp9, s0
	s_delay_alu instid0(VALU_DEP_1) | instid1(SALU_CYCLE_1)
	v_lshl_or_b32 v0, s0, 9, v0
	s_delay_alu instid0(VALU_DEP_1) | instskip(SKIP_2) | instid1(SALU_CYCLE_1)
	v_lshlrev_b64_e32 v[2:3], 3, v[0:1]
	s_wait_kmcnt 0x0
	s_add_co_i32 s0, s18, -1
	s_ashr_i32 s1, s0, 31
	s_bitcmp1_b32 s18, 0
	v_cmp_eq_u64_e32 vcc_lo, s[0:1], v[0:1]
	v_cmp_gt_i64_e64 s0, s[0:1], v[0:1]
	s_cselect_b32 s1, -1, 0
	s_lshl_b64 s[10:11], s[10:11], 3
	s_lshl_b64 s[14:15], s[14:15], 3
	s_and_b32 s1, s1, vcc_lo
	s_branch .LBB100_4
.LBB100_2:                              ;   in Loop: Header=BB100_4 Depth=1
	s_wait_xcnt 0x0
	s_or_b32 exec_lo, exec_lo, s17
.LBB100_3:                              ;   in Loop: Header=BB100_4 Depth=1
	s_add_co_i32 s2, s2, 0x10000
	s_delay_alu instid0(SALU_CYCLE_1)
	s_cmp_lt_u32 s2, s16
	s_cbranch_scc0 .LBB100_9
.LBB100_4:                              ; =>This Inner Loop Header: Depth=1
	s_wait_xcnt 0x0
	s_mul_u64 s[18:19], s[6:7], s[2:3]
	s_delay_alu instid0(SALU_CYCLE_1) | instskip(NEXT) | instid1(SALU_CYCLE_1)
	s_lshl_b64 s[18:19], s[18:19], 3
	s_add_nc_u64 s[18:19], s[4:5], s[18:19]
	global_load_b64 v[4:5], v1, s[18:19]
	s_wait_loadcnt 0x0
	v_or_b32_e32 v0, v4, v5
	s_delay_alu instid0(VALU_DEP_1) | instskip(NEXT) | instid1(VALU_DEP_1)
	v_and_b32_e32 v0, 0x7fffffff, v0
	v_cmp_eq_u32_e32 vcc_lo, 0, v0
	s_cbranch_vccnz .LBB100_3
; %bb.5:                                ;   in Loop: Header=BB100_4 Depth=1
	s_wait_xcnt 0x0
	s_lshl_b64 s[18:19], s[2:3], 3
	s_delay_alu instid0(SALU_CYCLE_1)
	s_add_nc_u64 s[20:21], s[12:13], s[18:19]
	s_add_nc_u64 s[18:19], s[8:9], s[18:19]
	s_load_b64 s[22:23], s[20:21], 0x0
	s_load_b64 s[24:25], s[18:19], 0x0
	s_wait_kmcnt 0x0
	s_wait_xcnt 0x0
	s_add_nc_u64 s[18:19], s[22:23], s[14:15]
	s_add_nc_u64 s[20:21], s[24:25], s[10:11]
	v_add_nc_u64_e32 v[6:7], s[18:19], v[2:3]
	v_add_nc_u64_e32 v[8:9], s[20:21], v[2:3]
	s_and_saveexec_b32 s17, s0
	s_cbranch_execz .LBB100_7
; %bb.6:                                ;   in Loop: Header=BB100_4 Depth=1
	flat_load_b64 v[14:15], v[8:9]
	flat_load_b128 v[10:13], v[6:7]
	v_mov_b32_e32 v0, v5
	s_wait_loadcnt_dscnt 0x101
	s_delay_alu instid0(VALU_DEP_1) | instskip(NEXT) | instid1(VALU_DEP_1)
	v_pk_mul_f32 v[16:17], v[14:15], v[0:1] op_sel_hi:[1,0]
	v_pk_fma_f32 v[18:19], v[14:15], v[4:5], v[16:17] op_sel:[0,0,1] op_sel_hi:[1,0,0]
	v_pk_fma_f32 v[14:15], v[14:15], v[4:5], v[16:17] op_sel:[0,0,1] op_sel_hi:[1,1,0] neg_lo:[0,0,1] neg_hi:[0,0,1]
	s_delay_alu instid0(VALU_DEP_2) | instskip(SKIP_1) | instid1(VALU_DEP_1)
	v_mov_b32_e32 v15, v19
	s_wait_loadcnt_dscnt 0x0
	v_pk_add_f32 v[10:11], v[14:15], v[10:11]
	flat_store_b64 v[6:7], v[10:11]
	flat_load_b64 v[10:11], v[8:9] offset:8
	s_wait_loadcnt_dscnt 0x0
	v_pk_mul_f32 v[14:15], v[10:11], v[0:1] op_sel_hi:[1,0]
	s_delay_alu instid0(VALU_DEP_1) | instskip(SKIP_1) | instid1(VALU_DEP_2)
	v_pk_fma_f32 v[16:17], v[10:11], v[4:5], v[14:15] op_sel:[0,0,1] op_sel_hi:[1,0,0]
	v_pk_fma_f32 v[10:11], v[10:11], v[4:5], v[14:15] op_sel:[0,0,1] op_sel_hi:[1,1,0] neg_lo:[0,0,1] neg_hi:[0,0,1]
	v_mov_b32_e32 v11, v17
	s_delay_alu instid0(VALU_DEP_1)
	v_pk_add_f32 v[10:11], v[10:11], v[12:13]
	flat_store_b64 v[6:7], v[10:11] offset:8
.LBB100_7:                              ;   in Loop: Header=BB100_4 Depth=1
	s_wait_xcnt 0x0
	s_or_b32 exec_lo, exec_lo, s17
	s_and_saveexec_b32 s17, s1
	s_cbranch_execz .LBB100_2
; %bb.8:                                ;   in Loop: Header=BB100_4 Depth=1
	flat_load_b64 v[10:11], v[8:9]
	flat_load_b64 v[12:13], v[6:7]
	v_mov_b32_e32 v0, v5
	s_wait_loadcnt_dscnt 0x101
	s_wait_xcnt 0x1
	s_delay_alu instid0(VALU_DEP_1) | instskip(NEXT) | instid1(VALU_DEP_1)
	v_pk_mul_f32 v[8:9], v[10:11], v[0:1] op_sel:[1,0] op_sel_hi:[0,0]
	v_pk_fma_f32 v[14:15], v[10:11], v[4:5], v[8:9] op_sel_hi:[1,0,1]
	v_pk_fma_f32 v[4:5], v[10:11], v[4:5], v[8:9] neg_lo:[0,0,1] neg_hi:[0,0,1]
	s_delay_alu instid0(VALU_DEP_2) | instskip(SKIP_1) | instid1(VALU_DEP_1)
	v_mov_b32_e32 v5, v15
	s_wait_loadcnt_dscnt 0x0
	v_pk_add_f32 v[4:5], v[4:5], v[12:13]
	flat_store_b64 v[6:7], v[4:5]
	s_branch .LBB100_2
.LBB100_9:
	s_endpgm
	.section	.rodata,"a",@progbits
	.p2align	6, 0x0
	.amdhsa_kernel _ZL22rocblas_saxpy_2_kernelILi256E19rocblas_complex_numIfEPKS1_PKS3_PKPS1_EviT1_lT2_llT3_lli
		.amdhsa_group_segment_fixed_size 0
		.amdhsa_private_segment_fixed_size 0
		.amdhsa_kernarg_size 76
		.amdhsa_user_sgpr_count 2
		.amdhsa_user_sgpr_dispatch_ptr 0
		.amdhsa_user_sgpr_queue_ptr 0
		.amdhsa_user_sgpr_kernarg_segment_ptr 1
		.amdhsa_user_sgpr_dispatch_id 0
		.amdhsa_user_sgpr_kernarg_preload_length 0
		.amdhsa_user_sgpr_kernarg_preload_offset 0
		.amdhsa_user_sgpr_private_segment_size 0
		.amdhsa_wavefront_size32 1
		.amdhsa_uses_dynamic_stack 0
		.amdhsa_enable_private_segment 0
		.amdhsa_system_sgpr_workgroup_id_x 1
		.amdhsa_system_sgpr_workgroup_id_y 0
		.amdhsa_system_sgpr_workgroup_id_z 1
		.amdhsa_system_sgpr_workgroup_info 0
		.amdhsa_system_vgpr_workitem_id 0
		.amdhsa_next_free_vgpr 20
		.amdhsa_next_free_sgpr 26
		.amdhsa_named_barrier_count 0
		.amdhsa_reserve_vcc 1
		.amdhsa_float_round_mode_32 0
		.amdhsa_float_round_mode_16_64 0
		.amdhsa_float_denorm_mode_32 3
		.amdhsa_float_denorm_mode_16_64 3
		.amdhsa_fp16_overflow 0
		.amdhsa_memory_ordered 1
		.amdhsa_forward_progress 1
		.amdhsa_inst_pref_size 6
		.amdhsa_round_robin_scheduling 0
		.amdhsa_exception_fp_ieee_invalid_op 0
		.amdhsa_exception_fp_denorm_src 0
		.amdhsa_exception_fp_ieee_div_zero 0
		.amdhsa_exception_fp_ieee_overflow 0
		.amdhsa_exception_fp_ieee_underflow 0
		.amdhsa_exception_fp_ieee_inexact 0
		.amdhsa_exception_int_div_zero 0
	.end_amdhsa_kernel
	.section	.text._ZL22rocblas_saxpy_2_kernelILi256E19rocblas_complex_numIfEPKS1_PKS3_PKPS1_EviT1_lT2_llT3_lli,"axG",@progbits,_ZL22rocblas_saxpy_2_kernelILi256E19rocblas_complex_numIfEPKS1_PKS3_PKPS1_EviT1_lT2_llT3_lli,comdat
.Lfunc_end100:
	.size	_ZL22rocblas_saxpy_2_kernelILi256E19rocblas_complex_numIfEPKS1_PKS3_PKPS1_EviT1_lT2_llT3_lli, .Lfunc_end100-_ZL22rocblas_saxpy_2_kernelILi256E19rocblas_complex_numIfEPKS1_PKS3_PKPS1_EviT1_lT2_llT3_lli
                                        ; -- End function
	.set _ZL22rocblas_saxpy_2_kernelILi256E19rocblas_complex_numIfEPKS1_PKS3_PKPS1_EviT1_lT2_llT3_lli.num_vgpr, 20
	.set _ZL22rocblas_saxpy_2_kernelILi256E19rocblas_complex_numIfEPKS1_PKS3_PKPS1_EviT1_lT2_llT3_lli.num_agpr, 0
	.set _ZL22rocblas_saxpy_2_kernelILi256E19rocblas_complex_numIfEPKS1_PKS3_PKPS1_EviT1_lT2_llT3_lli.numbered_sgpr, 26
	.set _ZL22rocblas_saxpy_2_kernelILi256E19rocblas_complex_numIfEPKS1_PKS3_PKPS1_EviT1_lT2_llT3_lli.num_named_barrier, 0
	.set _ZL22rocblas_saxpy_2_kernelILi256E19rocblas_complex_numIfEPKS1_PKS3_PKPS1_EviT1_lT2_llT3_lli.private_seg_size, 0
	.set _ZL22rocblas_saxpy_2_kernelILi256E19rocblas_complex_numIfEPKS1_PKS3_PKPS1_EviT1_lT2_llT3_lli.uses_vcc, 1
	.set _ZL22rocblas_saxpy_2_kernelILi256E19rocblas_complex_numIfEPKS1_PKS3_PKPS1_EviT1_lT2_llT3_lli.uses_flat_scratch, 0
	.set _ZL22rocblas_saxpy_2_kernelILi256E19rocblas_complex_numIfEPKS1_PKS3_PKPS1_EviT1_lT2_llT3_lli.has_dyn_sized_stack, 0
	.set _ZL22rocblas_saxpy_2_kernelILi256E19rocblas_complex_numIfEPKS1_PKS3_PKPS1_EviT1_lT2_llT3_lli.has_recursion, 0
	.set _ZL22rocblas_saxpy_2_kernelILi256E19rocblas_complex_numIfEPKS1_PKS3_PKPS1_EviT1_lT2_llT3_lli.has_indirect_call, 0
	.section	.AMDGPU.csdata,"",@progbits
; Kernel info:
; codeLenInByte = 648
; TotalNumSgprs: 28
; NumVgprs: 20
; ScratchSize: 0
; MemoryBound: 0
; FloatMode: 240
; IeeeMode: 1
; LDSByteSize: 0 bytes/workgroup (compile time only)
; SGPRBlocks: 0
; VGPRBlocks: 1
; NumSGPRsForWavesPerEU: 28
; NumVGPRsForWavesPerEU: 20
; NamedBarCnt: 0
; Occupancy: 16
; WaveLimiterHint : 1
; COMPUTE_PGM_RSRC2:SCRATCH_EN: 0
; COMPUTE_PGM_RSRC2:USER_SGPR: 2
; COMPUTE_PGM_RSRC2:TRAP_HANDLER: 0
; COMPUTE_PGM_RSRC2:TGID_X_EN: 1
; COMPUTE_PGM_RSRC2:TGID_Y_EN: 0
; COMPUTE_PGM_RSRC2:TGID_Z_EN: 1
; COMPUTE_PGM_RSRC2:TIDIG_COMP_CNT: 0
	.section	.text._ZL22rocblas_saxpy_2_kernelILi256E19rocblas_complex_numIfES1_PKPKS1_PKPS1_EviT1_lT2_llT3_lli,"axG",@progbits,_ZL22rocblas_saxpy_2_kernelILi256E19rocblas_complex_numIfES1_PKPKS1_PKPS1_EviT1_lT2_llT3_lli,comdat
	.globl	_ZL22rocblas_saxpy_2_kernelILi256E19rocblas_complex_numIfES1_PKPKS1_PKPS1_EviT1_lT2_llT3_lli ; -- Begin function _ZL22rocblas_saxpy_2_kernelILi256E19rocblas_complex_numIfES1_PKPKS1_PKPS1_EviT1_lT2_llT3_lli
	.p2align	8
	.type	_ZL22rocblas_saxpy_2_kernelILi256E19rocblas_complex_numIfES1_PKPKS1_PKPS1_EviT1_lT2_llT3_lli,@function
_ZL22rocblas_saxpy_2_kernelILi256E19rocblas_complex_numIfES1_PKPKS1_PKPS1_EviT1_lT2_llT3_lli: ; @_ZL22rocblas_saxpy_2_kernelILi256E19rocblas_complex_numIfES1_PKPKS1_PKPS1_EviT1_lT2_llT3_lli
; %bb.0:
	s_load_b32 s14, s[0:1], 0x48
	s_bfe_u32 s2, ttmp6, 0x40014
	s_lshr_b32 s3, ttmp7, 16
	s_add_co_i32 s2, s2, 1
	s_bfe_u32 s5, ttmp6, 0x40008
	s_mul_i32 s2, s3, s2
	s_getreg_b32 s4, hwreg(HW_REG_IB_STS2, 6, 4)
	s_add_co_i32 s5, s5, s2
	s_cmp_eq_u32 s4, 0
	s_cselect_b32 s15, s3, s5
	s_wait_kmcnt 0x0
	s_cmp_ge_u32 s15, s14
	s_cbranch_scc1 .LBB101_9
; %bb.1:
	s_clause 0x1
	s_load_b64 s[2:3], s[0:1], 0x4
	s_load_b32 s18, s[0:1], 0x0
	s_bfe_u32 s5, ttmp6, 0x4000c
	s_and_b32 s6, ttmp6, 15
	s_add_co_i32 s5, s5, 1
	v_dual_mov_b32 v3, 0 :: v_dual_lshlrev_b32 v0, 1, v0
	s_mul_i32 s5, ttmp9, s5
	s_delay_alu instid0(SALU_CYCLE_1)
	s_add_co_i32 s12, s6, s5
	s_cmp_eq_u32 s4, 0
	s_clause 0x1
	s_load_b128 s[4:7], s[0:1], 0x18
	s_load_b128 s[8:11], s[0:1], 0x30
	s_wait_xcnt 0x0
	s_cselect_b32 s0, ttmp9, s12
	s_delay_alu instid0(SALU_CYCLE_1) | instskip(NEXT) | instid1(VALU_DEP_1)
	v_lshl_or_b32 v2, s0, 9, v0
	v_lshlrev_b64_e32 v[0:1], 3, v[2:3]
	s_wait_kmcnt 0x0
	s_or_b32 s0, s2, s3
	s_mov_b32 s12, s2
	s_bitset0_b32 s0, 31
	s_mov_b32 s13, s2
	s_cmp_lg_u32 s0, 0
	s_mov_b32 s2, s3
	s_cselect_b32 s1, -1, 0
	s_add_co_i32 s16, s18, -1
	s_delay_alu instid0(SALU_CYCLE_1)
	s_ashr_i32 s17, s16, 31
	s_bitcmp1_b32 s18, 0
	v_cmp_eq_u64_e32 vcc_lo, s[16:17], v[2:3]
	v_cmp_gt_i64_e64 s0, s[16:17], v[2:3]
	s_cselect_b32 s16, -1, 0
	s_lshl_b64 s[6:7], s[6:7], 3
	s_lshl_b64 s[10:11], s[10:11], 3
	s_and_b32 s16, s16, vcc_lo
	s_branch .LBB101_4
.LBB101_2:                              ;   in Loop: Header=BB101_4 Depth=1
	s_wait_xcnt 0x0
	s_or_b32 exec_lo, exec_lo, s17
.LBB101_3:                              ;   in Loop: Header=BB101_4 Depth=1
	s_add_co_i32 s15, s15, 0x10000
	s_delay_alu instid0(SALU_CYCLE_1)
	s_cmp_lt_u32 s15, s14
	s_cbranch_scc0 .LBB101_9
.LBB101_4:                              ; =>This Inner Loop Header: Depth=1
	s_and_not1_b32 vcc_lo, exec_lo, s1
	s_cbranch_vccnz .LBB101_3
; %bb.5:                                ;   in Loop: Header=BB101_4 Depth=1
	s_load_b64 s[18:19], s[8:9], s15 offset:0x0 scale_offset
	s_load_b64 s[20:21], s[4:5], s15 offset:0x0 scale_offset
	s_wait_kmcnt 0x0
	s_add_nc_u64 s[18:19], s[18:19], s[10:11]
	s_add_nc_u64 s[20:21], s[20:21], s[6:7]
	v_add_nc_u64_e32 v[2:3], s[18:19], v[0:1]
	v_add_nc_u64_e32 v[4:5], s[20:21], v[0:1]
	s_and_saveexec_b32 s17, s0
	s_cbranch_execz .LBB101_7
; %bb.6:                                ;   in Loop: Header=BB101_4 Depth=1
	flat_load_b64 v[10:11], v[4:5]
	flat_load_b128 v[6:9], v[2:3]
	v_mov_b64_e32 v[12:13], s[2:3]
	v_mov_b64_e32 v[16:17], s[12:13]
	s_wait_loadcnt_dscnt 0x101
	s_delay_alu instid0(VALU_DEP_2) | instskip(NEXT) | instid1(VALU_DEP_1)
	v_pk_mul_f32 v[14:15], v[10:11], v[12:13]
	v_pk_fma_f32 v[18:19], v[10:11], v[16:17], v[14:15] op_sel:[0,0,1] op_sel_hi:[1,1,0]
	v_pk_fma_f32 v[10:11], v[10:11], v[16:17], v[14:15] op_sel:[0,0,1] op_sel_hi:[1,1,0] neg_lo:[0,0,1] neg_hi:[0,0,1]
	s_delay_alu instid0(VALU_DEP_2) | instskip(SKIP_1) | instid1(VALU_DEP_1)
	v_mov_b32_e32 v11, v19
	s_wait_loadcnt_dscnt 0x0
	v_pk_add_f32 v[6:7], v[10:11], v[6:7]
	flat_store_b64 v[2:3], v[6:7]
	flat_load_b64 v[6:7], v[4:5] offset:8
	s_wait_loadcnt_dscnt 0x0
	v_pk_mul_f32 v[10:11], v[6:7], v[12:13]
	s_delay_alu instid0(VALU_DEP_1) | instskip(SKIP_1) | instid1(VALU_DEP_2)
	v_pk_fma_f32 v[12:13], v[6:7], v[16:17], v[10:11] op_sel:[0,0,1] op_sel_hi:[1,1,0]
	v_pk_fma_f32 v[6:7], v[6:7], v[16:17], v[10:11] op_sel:[0,0,1] op_sel_hi:[1,1,0] neg_lo:[0,0,1] neg_hi:[0,0,1]
	v_mov_b32_e32 v7, v13
	s_delay_alu instid0(VALU_DEP_1)
	v_pk_add_f32 v[6:7], v[6:7], v[8:9]
	flat_store_b64 v[2:3], v[6:7] offset:8
.LBB101_7:                              ;   in Loop: Header=BB101_4 Depth=1
	s_wait_xcnt 0x0
	s_or_b32 exec_lo, exec_lo, s17
	s_and_saveexec_b32 s17, s16
	s_cbranch_execz .LBB101_2
; %bb.8:                                ;   in Loop: Header=BB101_4 Depth=1
	flat_load_b64 v[6:7], v[4:5]
	flat_load_b64 v[8:9], v[2:3]
	s_wait_xcnt 0x1
	v_mov_b64_e32 v[4:5], s[2:3]
	v_mov_b64_e32 v[10:11], s[12:13]
	s_wait_loadcnt_dscnt 0x101
	s_delay_alu instid0(VALU_DEP_2) | instskip(NEXT) | instid1(VALU_DEP_1)
	v_pk_mul_f32 v[4:5], v[6:7], v[4:5]
	v_pk_fma_f32 v[12:13], v[6:7], v[10:11], v[4:5] op_sel:[0,0,1] op_sel_hi:[1,1,0]
	v_pk_fma_f32 v[4:5], v[6:7], v[10:11], v[4:5] op_sel:[0,0,1] op_sel_hi:[1,1,0] neg_lo:[0,0,1] neg_hi:[0,0,1]
	s_delay_alu instid0(VALU_DEP_2) | instskip(SKIP_1) | instid1(VALU_DEP_1)
	v_mov_b32_e32 v5, v13
	s_wait_loadcnt_dscnt 0x0
	v_pk_add_f32 v[4:5], v[4:5], v[8:9]
	flat_store_b64 v[2:3], v[4:5]
	s_branch .LBB101_2
.LBB101_9:
	s_endpgm
	.section	.rodata,"a",@progbits
	.p2align	6, 0x0
	.amdhsa_kernel _ZL22rocblas_saxpy_2_kernelILi256E19rocblas_complex_numIfES1_PKPKS1_PKPS1_EviT1_lT2_llT3_lli
		.amdhsa_group_segment_fixed_size 0
		.amdhsa_private_segment_fixed_size 0
		.amdhsa_kernarg_size 76
		.amdhsa_user_sgpr_count 2
		.amdhsa_user_sgpr_dispatch_ptr 0
		.amdhsa_user_sgpr_queue_ptr 0
		.amdhsa_user_sgpr_kernarg_segment_ptr 1
		.amdhsa_user_sgpr_dispatch_id 0
		.amdhsa_user_sgpr_kernarg_preload_length 0
		.amdhsa_user_sgpr_kernarg_preload_offset 0
		.amdhsa_user_sgpr_private_segment_size 0
		.amdhsa_wavefront_size32 1
		.amdhsa_uses_dynamic_stack 0
		.amdhsa_enable_private_segment 0
		.amdhsa_system_sgpr_workgroup_id_x 1
		.amdhsa_system_sgpr_workgroup_id_y 0
		.amdhsa_system_sgpr_workgroup_id_z 1
		.amdhsa_system_sgpr_workgroup_info 0
		.amdhsa_system_vgpr_workitem_id 0
		.amdhsa_next_free_vgpr 20
		.amdhsa_next_free_sgpr 22
		.amdhsa_named_barrier_count 0
		.amdhsa_reserve_vcc 1
		.amdhsa_float_round_mode_32 0
		.amdhsa_float_round_mode_16_64 0
		.amdhsa_float_denorm_mode_32 3
		.amdhsa_float_denorm_mode_16_64 3
		.amdhsa_fp16_overflow 0
		.amdhsa_memory_ordered 1
		.amdhsa_forward_progress 1
		.amdhsa_inst_pref_size 5
		.amdhsa_round_robin_scheduling 0
		.amdhsa_exception_fp_ieee_invalid_op 0
		.amdhsa_exception_fp_denorm_src 0
		.amdhsa_exception_fp_ieee_div_zero 0
		.amdhsa_exception_fp_ieee_overflow 0
		.amdhsa_exception_fp_ieee_underflow 0
		.amdhsa_exception_fp_ieee_inexact 0
		.amdhsa_exception_int_div_zero 0
	.end_amdhsa_kernel
	.section	.text._ZL22rocblas_saxpy_2_kernelILi256E19rocblas_complex_numIfES1_PKPKS1_PKPS1_EviT1_lT2_llT3_lli,"axG",@progbits,_ZL22rocblas_saxpy_2_kernelILi256E19rocblas_complex_numIfES1_PKPKS1_PKPS1_EviT1_lT2_llT3_lli,comdat
.Lfunc_end101:
	.size	_ZL22rocblas_saxpy_2_kernelILi256E19rocblas_complex_numIfES1_PKPKS1_PKPS1_EviT1_lT2_llT3_lli, .Lfunc_end101-_ZL22rocblas_saxpy_2_kernelILi256E19rocblas_complex_numIfES1_PKPKS1_PKPS1_EviT1_lT2_llT3_lli
                                        ; -- End function
	.set _ZL22rocblas_saxpy_2_kernelILi256E19rocblas_complex_numIfES1_PKPKS1_PKPS1_EviT1_lT2_llT3_lli.num_vgpr, 20
	.set _ZL22rocblas_saxpy_2_kernelILi256E19rocblas_complex_numIfES1_PKPKS1_PKPS1_EviT1_lT2_llT3_lli.num_agpr, 0
	.set _ZL22rocblas_saxpy_2_kernelILi256E19rocblas_complex_numIfES1_PKPKS1_PKPS1_EviT1_lT2_llT3_lli.numbered_sgpr, 22
	.set _ZL22rocblas_saxpy_2_kernelILi256E19rocblas_complex_numIfES1_PKPKS1_PKPS1_EviT1_lT2_llT3_lli.num_named_barrier, 0
	.set _ZL22rocblas_saxpy_2_kernelILi256E19rocblas_complex_numIfES1_PKPKS1_PKPS1_EviT1_lT2_llT3_lli.private_seg_size, 0
	.set _ZL22rocblas_saxpy_2_kernelILi256E19rocblas_complex_numIfES1_PKPKS1_PKPS1_EviT1_lT2_llT3_lli.uses_vcc, 1
	.set _ZL22rocblas_saxpy_2_kernelILi256E19rocblas_complex_numIfES1_PKPKS1_PKPS1_EviT1_lT2_llT3_lli.uses_flat_scratch, 0
	.set _ZL22rocblas_saxpy_2_kernelILi256E19rocblas_complex_numIfES1_PKPKS1_PKPS1_EviT1_lT2_llT3_lli.has_dyn_sized_stack, 0
	.set _ZL22rocblas_saxpy_2_kernelILi256E19rocblas_complex_numIfES1_PKPKS1_PKPS1_EviT1_lT2_llT3_lli.has_recursion, 0
	.set _ZL22rocblas_saxpy_2_kernelILi256E19rocblas_complex_numIfES1_PKPKS1_PKPS1_EviT1_lT2_llT3_lli.has_indirect_call, 0
	.section	.AMDGPU.csdata,"",@progbits
; Kernel info:
; codeLenInByte = 620
; TotalNumSgprs: 24
; NumVgprs: 20
; ScratchSize: 0
; MemoryBound: 0
; FloatMode: 240
; IeeeMode: 1
; LDSByteSize: 0 bytes/workgroup (compile time only)
; SGPRBlocks: 0
; VGPRBlocks: 1
; NumSGPRsForWavesPerEU: 24
; NumVGPRsForWavesPerEU: 20
; NamedBarCnt: 0
; Occupancy: 16
; WaveLimiterHint : 1
; COMPUTE_PGM_RSRC2:SCRATCH_EN: 0
; COMPUTE_PGM_RSRC2:USER_SGPR: 2
; COMPUTE_PGM_RSRC2:TRAP_HANDLER: 0
; COMPUTE_PGM_RSRC2:TGID_X_EN: 1
; COMPUTE_PGM_RSRC2:TGID_Y_EN: 0
; COMPUTE_PGM_RSRC2:TGID_Z_EN: 1
; COMPUTE_PGM_RSRC2:TIDIG_COMP_CNT: 0
	.section	.text._ZL27rocblas_axpy_kernel_batchedIiLi128ELi8E19rocblas_complex_numIfEPKS1_PKS3_PKPS1_EviT3_lT4_lT_lT5_lSB_li,"axG",@progbits,_ZL27rocblas_axpy_kernel_batchedIiLi128ELi8E19rocblas_complex_numIfEPKS1_PKS3_PKPS1_EviT3_lT4_lT_lT5_lSB_li,comdat
	.globl	_ZL27rocblas_axpy_kernel_batchedIiLi128ELi8E19rocblas_complex_numIfEPKS1_PKS3_PKPS1_EviT3_lT4_lT_lT5_lSB_li ; -- Begin function _ZL27rocblas_axpy_kernel_batchedIiLi128ELi8E19rocblas_complex_numIfEPKS1_PKS3_PKPS1_EviT3_lT4_lT_lT5_lSB_li
	.p2align	8
	.type	_ZL27rocblas_axpy_kernel_batchedIiLi128ELi8E19rocblas_complex_numIfEPKS1_PKS3_PKPS1_EviT3_lT4_lT_lT5_lSB_li,@function
_ZL27rocblas_axpy_kernel_batchedIiLi128ELi8E19rocblas_complex_numIfEPKS1_PKS3_PKPS1_EviT3_lT4_lT_lT5_lSB_li: ; @_ZL27rocblas_axpy_kernel_batchedIiLi128ELi8E19rocblas_complex_numIfEPKS1_PKS3_PKPS1_EviT3_lT4_lT_lT5_lSB_li
; %bb.0:
	s_load_b32 s4, s[0:1], 0x0
	s_bfe_u32 s2, ttmp6, 0x4000c
	s_and_b32 s5, ttmp6, 15
	s_add_co_i32 s2, s2, 1
	s_getreg_b32 s3, hwreg(HW_REG_IB_STS2, 6, 4)
	s_mul_i32 s2, ttmp9, s2
	v_and_b32_e32 v1, 0x3ff, v0
	s_add_co_i32 s2, s5, s2
	v_mov_b32_e32 v5, 0
	s_wait_kmcnt 0x0
	s_ashr_i32 s5, s4, 31
	s_cmp_eq_u32 s3, 0
	s_cselect_b32 s2, ttmp9, s2
	s_delay_alu instid0(SALU_CYCLE_1) | instskip(SKIP_1) | instid1(VALU_DEP_1)
	v_lshl_add_u32 v4, s2, 7, v1
	s_mov_b32 s2, exec_lo
	v_cmpx_gt_i64_e64 s[4:5], v[4:5]
	s_cbranch_execz .LBB102_15
; %bb.1:
	s_load_b32 s2, s[0:1], 0x58
	s_bfe_u32 s4, ttmp6, 0x40014
	v_lshrrev_b32_e32 v0, 8, v0
	s_lshr_b32 s5, ttmp7, 16
	s_add_co_i32 s4, s4, 1
	s_bfe_u32 s6, ttmp6, 0x40008
	s_mul_i32 s4, s5, s4
	v_and_b32_e32 v0, 0xffc, v0
	s_add_co_i32 s6, s6, s4
	s_cmp_eq_u32 s3, 0
	s_cselect_b32 s3, s5, s6
	s_delay_alu instid0(VALU_DEP_1) | instid1(SALU_CYCLE_1)
	v_lshl_add_u32 v0, s3, 5, v0
	s_wait_kmcnt 0x0
	s_delay_alu instid0(VALU_DEP_1)
	v_cmp_gt_u32_e32 vcc_lo, s2, v0
	s_and_b32 exec_lo, exec_lo, vcc_lo
	s_cbranch_execz .LBB102_15
; %bb.2:
	s_clause 0x3
	s_load_b32 s4, s[0:1], 0x28
	s_load_b32 s6, s[0:1], 0x48
	s_load_b128 s[12:15], s[0:1], 0x38
	s_load_b32 s3, s[0:1], 0x68
	v_mov_b32_e32 v1, 0
	s_wait_kmcnt 0x0
	s_ashr_i32 s5, s4, 31
	s_ashr_i32 s7, s6, 31
	v_mul_u64_e32 v[2:3], s[4:5], v[4:5]
	v_mul_u64_e32 v[4:5], s[6:7], v[4:5]
	s_load_b256 s[4:11], s[0:1], 0x8
	s_wait_xcnt 0x0
	s_lshl_b32 s0, s3, 5
	s_mov_b32 s1, 0
	s_branch .LBB102_4
.LBB102_3:                              ;   in Loop: Header=BB102_4 Depth=1
	s_wait_xcnt 0x0
	s_or_b32 exec_lo, exec_lo, s3
	v_add_nc_u32_e32 v0, s0, v0
	s_delay_alu instid0(VALU_DEP_1) | instskip(SKIP_1) | instid1(SALU_CYCLE_1)
	v_cmp_le_u32_e32 vcc_lo, s2, v0
	s_or_b32 s1, vcc_lo, s1
	s_and_not1_b32 exec_lo, exec_lo, s1
	s_cbranch_execz .LBB102_15
.LBB102_4:                              ; =>This Inner Loop Header: Depth=1
	s_wait_kmcnt 0x0
	v_mul_u64_e32 v[6:7], s[6:7], v[0:1]
	s_mov_b32 s3, exec_lo
	s_delay_alu instid0(VALU_DEP_1) | instskip(SKIP_4) | instid1(VALU_DEP_1)
	v_lshl_add_u64 v[6:7], v[6:7], 3, s[4:5]
	global_load_b64 v[6:7], v[6:7], off
	s_wait_loadcnt 0x0
	v_bitop3_b32 v8, v6, 0x7fffffff, v7 bitop3:0xc8
	s_wait_xcnt 0x0
	v_cmpx_ne_u32_e32 0, v8
	s_cbranch_execz .LBB102_6
; %bb.5:                                ;   in Loop: Header=BB102_4 Depth=1
	v_lshlrev_b64_e32 v[8:9], 3, v[0:1]
	v_mov_b32_e32 v14, v7
	s_delay_alu instid0(VALU_DEP_2)
	v_add_nc_u64_e32 v[10:11], s[8:9], v[8:9]
	v_add_nc_u64_e32 v[8:9], s[12:13], v[8:9]
	global_load_b64 v[10:11], v[10:11], off
	global_load_b64 v[8:9], v[8:9], off
	s_wait_loadcnt 0x1
	s_wait_xcnt 0x1
	v_lshl_add_u64 v[10:11], s[10:11], 3, v[10:11]
	s_wait_loadcnt 0x0
	s_wait_xcnt 0x0
	v_lshl_add_u64 v[8:9], s[14:15], 3, v[8:9]
	s_delay_alu instid0(VALU_DEP_2) | instskip(NEXT) | instid1(VALU_DEP_2)
	v_lshl_add_u64 v[10:11], v[2:3], 3, v[10:11]
	v_lshl_add_u64 v[8:9], v[4:5], 3, v[8:9]
	flat_load_b64 v[10:11], v[10:11]
	flat_load_b64 v[12:13], v[8:9]
	s_wait_loadcnt_dscnt 0x101
	v_pk_mul_f32 v[14:15], v[10:11], v[14:15] op_sel:[1,0] op_sel_hi:[0,0]
	s_delay_alu instid0(VALU_DEP_1) | instskip(SKIP_1) | instid1(VALU_DEP_2)
	v_pk_fma_f32 v[16:17], v[10:11], v[6:7], v[14:15] op_sel_hi:[1,0,1]
	v_pk_fma_f32 v[6:7], v[10:11], v[6:7], v[14:15] neg_lo:[0,0,1] neg_hi:[0,0,1]
	v_mov_b32_e32 v7, v17
	s_wait_loadcnt_dscnt 0x0
	s_delay_alu instid0(VALU_DEP_1)
	v_pk_add_f32 v[6:7], v[6:7], v[12:13]
	flat_store_b64 v[8:9], v[6:7]
.LBB102_6:                              ;   in Loop: Header=BB102_4 Depth=1
	s_wait_xcnt 0x0
	s_or_b32 exec_lo, exec_lo, s3
	v_add_nc_u32_e32 v6, 1, v0
	s_mov_b32 s3, exec_lo
	s_delay_alu instid0(VALU_DEP_1)
	v_cmpx_gt_u32_e64 s2, v6
	s_cbranch_execz .LBB102_9
; %bb.7:                                ;   in Loop: Header=BB102_4 Depth=1
	v_mov_b32_e32 v7, v1
	s_delay_alu instid0(VALU_DEP_1) | instskip(NEXT) | instid1(VALU_DEP_1)
	v_mul_u64_e32 v[6:7], s[6:7], v[6:7]
	v_lshl_add_u64 v[6:7], v[6:7], 3, s[4:5]
	global_load_b64 v[6:7], v[6:7], off
	s_wait_loadcnt 0x0
	v_bitop3_b32 v8, v6, 0x7fffffff, v7 bitop3:0xc8
	s_delay_alu instid0(VALU_DEP_1)
	v_cmp_ne_u32_e32 vcc_lo, 0, v8
	s_wait_xcnt 0x0
	s_and_b32 exec_lo, exec_lo, vcc_lo
	s_cbranch_execz .LBB102_9
; %bb.8:                                ;   in Loop: Header=BB102_4 Depth=1
	v_lshlrev_b64_e32 v[8:9], 3, v[0:1]
	v_mov_b32_e32 v14, v7
	s_delay_alu instid0(VALU_DEP_2)
	v_add_nc_u64_e32 v[10:11], s[8:9], v[8:9]
	v_add_nc_u64_e32 v[8:9], s[12:13], v[8:9]
	global_load_b64 v[10:11], v[10:11], off offset:8
	global_load_b64 v[8:9], v[8:9], off offset:8
	s_wait_loadcnt 0x1
	s_wait_xcnt 0x1
	v_lshl_add_u64 v[10:11], s[10:11], 3, v[10:11]
	s_wait_loadcnt 0x0
	v_lshl_add_u64 v[8:9], s[14:15], 3, v[8:9]
	s_delay_alu instid0(VALU_DEP_2) | instskip(NEXT) | instid1(VALU_DEP_2)
	v_lshl_add_u64 v[10:11], v[2:3], 3, v[10:11]
	v_lshl_add_u64 v[8:9], v[4:5], 3, v[8:9]
	flat_load_b64 v[10:11], v[10:11]
	flat_load_b64 v[12:13], v[8:9]
	s_wait_loadcnt_dscnt 0x101
	v_pk_mul_f32 v[14:15], v[10:11], v[14:15] op_sel:[1,0] op_sel_hi:[0,0]
	s_delay_alu instid0(VALU_DEP_1) | instskip(SKIP_1) | instid1(VALU_DEP_2)
	v_pk_fma_f32 v[16:17], v[10:11], v[6:7], v[14:15] op_sel_hi:[1,0,1]
	v_pk_fma_f32 v[6:7], v[10:11], v[6:7], v[14:15] neg_lo:[0,0,1] neg_hi:[0,0,1]
	v_mov_b32_e32 v7, v17
	s_wait_loadcnt_dscnt 0x0
	s_delay_alu instid0(VALU_DEP_1)
	v_pk_add_f32 v[6:7], v[6:7], v[12:13]
	flat_store_b64 v[8:9], v[6:7]
.LBB102_9:                              ;   in Loop: Header=BB102_4 Depth=1
	s_wait_xcnt 0x0
	s_or_b32 exec_lo, exec_lo, s3
	v_add_nc_u32_e32 v6, 2, v0
	s_mov_b32 s3, exec_lo
	s_delay_alu instid0(VALU_DEP_1)
	v_cmpx_gt_u32_e64 s2, v6
	s_cbranch_execz .LBB102_12
; %bb.10:                               ;   in Loop: Header=BB102_4 Depth=1
	v_mov_b32_e32 v7, v1
	s_delay_alu instid0(VALU_DEP_1) | instskip(NEXT) | instid1(VALU_DEP_1)
	v_mul_u64_e32 v[6:7], s[6:7], v[6:7]
	v_lshl_add_u64 v[6:7], v[6:7], 3, s[4:5]
	global_load_b64 v[6:7], v[6:7], off
	s_wait_loadcnt 0x0
	v_bitop3_b32 v8, v6, 0x7fffffff, v7 bitop3:0xc8
	s_delay_alu instid0(VALU_DEP_1)
	v_cmp_ne_u32_e32 vcc_lo, 0, v8
	s_wait_xcnt 0x0
	s_and_b32 exec_lo, exec_lo, vcc_lo
	s_cbranch_execz .LBB102_12
; %bb.11:                               ;   in Loop: Header=BB102_4 Depth=1
	v_lshlrev_b64_e32 v[8:9], 3, v[0:1]
	v_mov_b32_e32 v14, v7
	s_delay_alu instid0(VALU_DEP_2)
	v_add_nc_u64_e32 v[10:11], s[8:9], v[8:9]
	v_add_nc_u64_e32 v[8:9], s[12:13], v[8:9]
	global_load_b64 v[10:11], v[10:11], off offset:16
	global_load_b64 v[8:9], v[8:9], off offset:16
	s_wait_loadcnt 0x1
	s_wait_xcnt 0x1
	v_lshl_add_u64 v[10:11], s[10:11], 3, v[10:11]
	s_wait_loadcnt 0x0
	v_lshl_add_u64 v[8:9], s[14:15], 3, v[8:9]
	s_delay_alu instid0(VALU_DEP_2) | instskip(NEXT) | instid1(VALU_DEP_2)
	v_lshl_add_u64 v[10:11], v[2:3], 3, v[10:11]
	v_lshl_add_u64 v[8:9], v[4:5], 3, v[8:9]
	flat_load_b64 v[10:11], v[10:11]
	flat_load_b64 v[12:13], v[8:9]
	s_wait_loadcnt_dscnt 0x101
	v_pk_mul_f32 v[14:15], v[10:11], v[14:15] op_sel:[1,0] op_sel_hi:[0,0]
	s_delay_alu instid0(VALU_DEP_1) | instskip(SKIP_1) | instid1(VALU_DEP_2)
	v_pk_fma_f32 v[16:17], v[10:11], v[6:7], v[14:15] op_sel_hi:[1,0,1]
	v_pk_fma_f32 v[6:7], v[10:11], v[6:7], v[14:15] neg_lo:[0,0,1] neg_hi:[0,0,1]
	v_mov_b32_e32 v7, v17
	s_wait_loadcnt_dscnt 0x0
	s_delay_alu instid0(VALU_DEP_1)
	v_pk_add_f32 v[6:7], v[6:7], v[12:13]
	flat_store_b64 v[8:9], v[6:7]
.LBB102_12:                             ;   in Loop: Header=BB102_4 Depth=1
	s_wait_xcnt 0x0
	s_or_b32 exec_lo, exec_lo, s3
	v_add_nc_u32_e32 v6, 3, v0
	s_mov_b32 s3, exec_lo
	s_delay_alu instid0(VALU_DEP_1)
	v_cmpx_gt_u32_e64 s2, v6
	s_cbranch_execz .LBB102_3
; %bb.13:                               ;   in Loop: Header=BB102_4 Depth=1
	v_mov_b32_e32 v7, v1
	s_delay_alu instid0(VALU_DEP_1) | instskip(NEXT) | instid1(VALU_DEP_1)
	v_mul_u64_e32 v[6:7], s[6:7], v[6:7]
	v_lshl_add_u64 v[6:7], v[6:7], 3, s[4:5]
	global_load_b64 v[6:7], v[6:7], off
	s_wait_loadcnt 0x0
	v_bitop3_b32 v8, v6, 0x7fffffff, v7 bitop3:0xc8
	s_delay_alu instid0(VALU_DEP_1)
	v_cmp_ne_u32_e32 vcc_lo, 0, v8
	s_wait_xcnt 0x0
	s_and_b32 exec_lo, exec_lo, vcc_lo
	s_cbranch_execz .LBB102_3
; %bb.14:                               ;   in Loop: Header=BB102_4 Depth=1
	v_lshlrev_b64_e32 v[8:9], 3, v[0:1]
	v_mov_b32_e32 v14, v7
	s_delay_alu instid0(VALU_DEP_2)
	v_add_nc_u64_e32 v[10:11], s[8:9], v[8:9]
	v_add_nc_u64_e32 v[8:9], s[12:13], v[8:9]
	global_load_b64 v[10:11], v[10:11], off offset:24
	global_load_b64 v[8:9], v[8:9], off offset:24
	s_wait_loadcnt 0x1
	s_wait_xcnt 0x1
	v_lshl_add_u64 v[10:11], s[10:11], 3, v[10:11]
	s_wait_loadcnt 0x0
	v_lshl_add_u64 v[8:9], s[14:15], 3, v[8:9]
	s_delay_alu instid0(VALU_DEP_2) | instskip(NEXT) | instid1(VALU_DEP_2)
	v_lshl_add_u64 v[10:11], v[2:3], 3, v[10:11]
	v_lshl_add_u64 v[8:9], v[4:5], 3, v[8:9]
	flat_load_b64 v[10:11], v[10:11]
	flat_load_b64 v[12:13], v[8:9]
	s_wait_loadcnt_dscnt 0x101
	v_pk_mul_f32 v[14:15], v[10:11], v[14:15] op_sel:[1,0] op_sel_hi:[0,0]
	s_delay_alu instid0(VALU_DEP_1) | instskip(SKIP_1) | instid1(VALU_DEP_2)
	v_pk_fma_f32 v[16:17], v[10:11], v[6:7], v[14:15] op_sel_hi:[1,0,1]
	v_pk_fma_f32 v[6:7], v[10:11], v[6:7], v[14:15] neg_lo:[0,0,1] neg_hi:[0,0,1]
	v_mov_b32_e32 v7, v17
	s_wait_loadcnt_dscnt 0x0
	s_delay_alu instid0(VALU_DEP_1)
	v_pk_add_f32 v[6:7], v[6:7], v[12:13]
	flat_store_b64 v[8:9], v[6:7]
	s_branch .LBB102_3
.LBB102_15:
	s_endpgm
	.section	.rodata,"a",@progbits
	.p2align	6, 0x0
	.amdhsa_kernel _ZL27rocblas_axpy_kernel_batchedIiLi128ELi8E19rocblas_complex_numIfEPKS1_PKS3_PKPS1_EviT3_lT4_lT_lT5_lSB_li
		.amdhsa_group_segment_fixed_size 0
		.amdhsa_private_segment_fixed_size 0
		.amdhsa_kernarg_size 352
		.amdhsa_user_sgpr_count 2
		.amdhsa_user_sgpr_dispatch_ptr 0
		.amdhsa_user_sgpr_queue_ptr 0
		.amdhsa_user_sgpr_kernarg_segment_ptr 1
		.amdhsa_user_sgpr_dispatch_id 0
		.amdhsa_user_sgpr_kernarg_preload_length 0
		.amdhsa_user_sgpr_kernarg_preload_offset 0
		.amdhsa_user_sgpr_private_segment_size 0
		.amdhsa_wavefront_size32 1
		.amdhsa_uses_dynamic_stack 0
		.amdhsa_enable_private_segment 0
		.amdhsa_system_sgpr_workgroup_id_x 1
		.amdhsa_system_sgpr_workgroup_id_y 0
		.amdhsa_system_sgpr_workgroup_id_z 1
		.amdhsa_system_sgpr_workgroup_info 0
		.amdhsa_system_vgpr_workitem_id 1
		.amdhsa_next_free_vgpr 18
		.amdhsa_next_free_sgpr 16
		.amdhsa_named_barrier_count 0
		.amdhsa_reserve_vcc 1
		.amdhsa_float_round_mode_32 0
		.amdhsa_float_round_mode_16_64 0
		.amdhsa_float_denorm_mode_32 3
		.amdhsa_float_denorm_mode_16_64 3
		.amdhsa_fp16_overflow 0
		.amdhsa_memory_ordered 1
		.amdhsa_forward_progress 1
		.amdhsa_inst_pref_size 11
		.amdhsa_round_robin_scheduling 0
		.amdhsa_exception_fp_ieee_invalid_op 0
		.amdhsa_exception_fp_denorm_src 0
		.amdhsa_exception_fp_ieee_div_zero 0
		.amdhsa_exception_fp_ieee_overflow 0
		.amdhsa_exception_fp_ieee_underflow 0
		.amdhsa_exception_fp_ieee_inexact 0
		.amdhsa_exception_int_div_zero 0
	.end_amdhsa_kernel
	.section	.text._ZL27rocblas_axpy_kernel_batchedIiLi128ELi8E19rocblas_complex_numIfEPKS1_PKS3_PKPS1_EviT3_lT4_lT_lT5_lSB_li,"axG",@progbits,_ZL27rocblas_axpy_kernel_batchedIiLi128ELi8E19rocblas_complex_numIfEPKS1_PKS3_PKPS1_EviT3_lT4_lT_lT5_lSB_li,comdat
.Lfunc_end102:
	.size	_ZL27rocblas_axpy_kernel_batchedIiLi128ELi8E19rocblas_complex_numIfEPKS1_PKS3_PKPS1_EviT3_lT4_lT_lT5_lSB_li, .Lfunc_end102-_ZL27rocblas_axpy_kernel_batchedIiLi128ELi8E19rocblas_complex_numIfEPKS1_PKS3_PKPS1_EviT3_lT4_lT_lT5_lSB_li
                                        ; -- End function
	.set _ZL27rocblas_axpy_kernel_batchedIiLi128ELi8E19rocblas_complex_numIfEPKS1_PKS3_PKPS1_EviT3_lT4_lT_lT5_lSB_li.num_vgpr, 18
	.set _ZL27rocblas_axpy_kernel_batchedIiLi128ELi8E19rocblas_complex_numIfEPKS1_PKS3_PKPS1_EviT3_lT4_lT_lT5_lSB_li.num_agpr, 0
	.set _ZL27rocblas_axpy_kernel_batchedIiLi128ELi8E19rocblas_complex_numIfEPKS1_PKS3_PKPS1_EviT3_lT4_lT_lT5_lSB_li.numbered_sgpr, 16
	.set _ZL27rocblas_axpy_kernel_batchedIiLi128ELi8E19rocblas_complex_numIfEPKS1_PKS3_PKPS1_EviT3_lT4_lT_lT5_lSB_li.num_named_barrier, 0
	.set _ZL27rocblas_axpy_kernel_batchedIiLi128ELi8E19rocblas_complex_numIfEPKS1_PKS3_PKPS1_EviT3_lT4_lT_lT5_lSB_li.private_seg_size, 0
	.set _ZL27rocblas_axpy_kernel_batchedIiLi128ELi8E19rocblas_complex_numIfEPKS1_PKS3_PKPS1_EviT3_lT4_lT_lT5_lSB_li.uses_vcc, 1
	.set _ZL27rocblas_axpy_kernel_batchedIiLi128ELi8E19rocblas_complex_numIfEPKS1_PKS3_PKPS1_EviT3_lT4_lT_lT5_lSB_li.uses_flat_scratch, 0
	.set _ZL27rocblas_axpy_kernel_batchedIiLi128ELi8E19rocblas_complex_numIfEPKS1_PKS3_PKPS1_EviT3_lT4_lT_lT5_lSB_li.has_dyn_sized_stack, 0
	.set _ZL27rocblas_axpy_kernel_batchedIiLi128ELi8E19rocblas_complex_numIfEPKS1_PKS3_PKPS1_EviT3_lT4_lT_lT5_lSB_li.has_recursion, 0
	.set _ZL27rocblas_axpy_kernel_batchedIiLi128ELi8E19rocblas_complex_numIfEPKS1_PKS3_PKPS1_EviT3_lT4_lT_lT5_lSB_li.has_indirect_call, 0
	.section	.AMDGPU.csdata,"",@progbits
; Kernel info:
; codeLenInByte = 1396
; TotalNumSgprs: 18
; NumVgprs: 18
; ScratchSize: 0
; MemoryBound: 0
; FloatMode: 240
; IeeeMode: 1
; LDSByteSize: 0 bytes/workgroup (compile time only)
; SGPRBlocks: 0
; VGPRBlocks: 1
; NumSGPRsForWavesPerEU: 18
; NumVGPRsForWavesPerEU: 18
; NamedBarCnt: 0
; Occupancy: 16
; WaveLimiterHint : 1
; COMPUTE_PGM_RSRC2:SCRATCH_EN: 0
; COMPUTE_PGM_RSRC2:USER_SGPR: 2
; COMPUTE_PGM_RSRC2:TRAP_HANDLER: 0
; COMPUTE_PGM_RSRC2:TGID_X_EN: 1
; COMPUTE_PGM_RSRC2:TGID_Y_EN: 0
; COMPUTE_PGM_RSRC2:TGID_Z_EN: 1
; COMPUTE_PGM_RSRC2:TIDIG_COMP_CNT: 1
	.section	.text._ZL27rocblas_axpy_kernel_batchedIiLi128ELi8E19rocblas_complex_numIfES1_PKPKS1_PKPS1_EviT3_lT4_lT_lT5_lSB_li,"axG",@progbits,_ZL27rocblas_axpy_kernel_batchedIiLi128ELi8E19rocblas_complex_numIfES1_PKPKS1_PKPS1_EviT3_lT4_lT_lT5_lSB_li,comdat
	.globl	_ZL27rocblas_axpy_kernel_batchedIiLi128ELi8E19rocblas_complex_numIfES1_PKPKS1_PKPS1_EviT3_lT4_lT_lT5_lSB_li ; -- Begin function _ZL27rocblas_axpy_kernel_batchedIiLi128ELi8E19rocblas_complex_numIfES1_PKPKS1_PKPS1_EviT3_lT4_lT_lT5_lSB_li
	.p2align	8
	.type	_ZL27rocblas_axpy_kernel_batchedIiLi128ELi8E19rocblas_complex_numIfES1_PKPKS1_PKPS1_EviT3_lT4_lT_lT5_lSB_li,@function
_ZL27rocblas_axpy_kernel_batchedIiLi128ELi8E19rocblas_complex_numIfES1_PKPKS1_PKPS1_EviT3_lT4_lT_lT5_lSB_li: ; @_ZL27rocblas_axpy_kernel_batchedIiLi128ELi8E19rocblas_complex_numIfES1_PKPKS1_PKPS1_EviT3_lT4_lT_lT5_lSB_li
; %bb.0:
	s_load_b96 s[12:14], s[0:1], 0x0
	s_bfe_u32 s2, ttmp6, 0x4000c
	s_and_b32 s4, ttmp6, 15
	s_add_co_i32 s2, s2, 1
	s_getreg_b32 s3, hwreg(HW_REG_IB_STS2, 6, 4)
	s_mul_i32 s2, ttmp9, s2
	v_and_b32_e32 v1, 0x3ff, v0
	s_add_co_i32 s4, s4, s2
	s_cmp_eq_u32 s3, 0
	v_mov_b32_e32 v3, 0
	s_cselect_b32 s2, ttmp9, s4
	s_delay_alu instid0(SALU_CYCLE_1) | instskip(SKIP_4) | instid1(SALU_CYCLE_1)
	v_lshl_add_u32 v2, s2, 7, v1
	s_mov_b32 s2, exec_lo
	s_wait_kmcnt 0x0
	s_ashr_i32 s5, s12, 31
	s_mov_b32 s4, s12
	v_cmpx_gt_i64_e64 s[4:5], v[2:3]
	s_cbranch_execz .LBB103_12
; %bb.1:
	s_load_b32 s2, s[0:1], 0x58
	s_bfe_u32 s4, ttmp6, 0x40014
	v_lshrrev_b32_e32 v0, 8, v0
	s_lshr_b32 s5, ttmp7, 16
	s_add_co_i32 s4, s4, 1
	s_bfe_u32 s6, ttmp6, 0x40008
	s_mul_i32 s4, s5, s4
	v_and_b32_e32 v0, 0xffc, v0
	s_add_co_i32 s6, s6, s4
	s_cmp_eq_u32 s3, 0
	s_cselect_b32 s3, s5, s6
	s_delay_alu instid0(VALU_DEP_1) | instid1(SALU_CYCLE_1)
	v_lshl_add_u32 v4, s3, 5, v0
	s_wait_kmcnt 0x0
	s_delay_alu instid0(VALU_DEP_1)
	v_cmp_gt_u32_e32 vcc_lo, s2, v4
	s_and_b32 exec_lo, exec_lo, vcc_lo
	s_cbranch_execz .LBB103_12
; %bb.2:
	s_clause 0x2
	s_load_b32 s4, s[0:1], 0x28
	s_load_b32 s6, s[0:1], 0x48
	;; [unrolled: 1-line block ×3, first 2 shown]
	s_mov_b32 s3, 0
	s_wait_kmcnt 0x0
	s_ashr_i32 s5, s4, 31
	s_ashr_i32 s7, s6, 31
	v_mul_u64_e32 v[0:1], s[4:5], v[2:3]
	v_mul_u64_e32 v[2:3], s[6:7], v[2:3]
	s_clause 0x1
	s_load_b128 s[4:7], s[0:1], 0x18
	s_load_b128 s[8:11], s[0:1], 0x38
	s_wait_xcnt 0x0
	s_or_b32 s0, s13, s14
	s_mov_b32 s1, s14
	s_bitset0_b32 s0, 31
	s_delay_alu instid0(SALU_CYCLE_1)
	s_cmp_eq_u32 s0, 0
	s_cselect_b32 s17, -1, 0
	s_cmp_lg_u32 s0, 0
	s_mov_b32 s0, s14
	s_cselect_b32 s15, -1, 0
	s_lshl_b32 s16, s12, 5
	s_mov_b32 s12, s13
	s_xor_b32 s14, s17, -1
	s_branch .LBB103_4
.LBB103_3:                              ;   in Loop: Header=BB103_4 Depth=1
	s_wait_xcnt 0x0
	s_or_b32 exec_lo, exec_lo, s17
	v_add_nc_u32_e32 v4, s16, v4
	s_delay_alu instid0(VALU_DEP_1) | instskip(SKIP_1) | instid1(SALU_CYCLE_1)
	v_cmp_le_u32_e32 vcc_lo, s2, v4
	s_or_b32 s3, vcc_lo, s3
	s_and_not1_b32 exec_lo, exec_lo, s3
	s_cbranch_execz .LBB103_12
.LBB103_4:                              ; =>This Inner Loop Header: Depth=1
	s_and_not1_b32 vcc_lo, exec_lo, s15
	s_cbranch_vccnz .LBB103_6
; %bb.5:                                ;   in Loop: Header=BB103_4 Depth=1
	s_wait_kmcnt 0x0
	s_clause 0x1
	global_load_b64 v[6:7], v4, s[4:5] scale_offset
	global_load_b64 v[8:9], v4, s[8:9] scale_offset
	v_mov_b64_e32 v[12:13], s[0:1]
	v_mov_b64_e32 v[14:15], s[12:13]
	s_wait_loadcnt 0x1
	v_lshl_add_u64 v[6:7], s[6:7], 3, v[6:7]
	s_wait_loadcnt 0x0
	v_lshl_add_u64 v[8:9], s[10:11], 3, v[8:9]
	s_delay_alu instid0(VALU_DEP_2) | instskip(NEXT) | instid1(VALU_DEP_2)
	v_lshl_add_u64 v[6:7], v[0:1], 3, v[6:7]
	v_lshl_add_u64 v[8:9], v[2:3], 3, v[8:9]
	flat_load_b64 v[6:7], v[6:7]
	flat_load_b64 v[10:11], v[8:9]
	s_wait_loadcnt_dscnt 0x101
	v_pk_mul_f32 v[12:13], v[6:7], v[12:13]
	s_delay_alu instid0(VALU_DEP_1) | instskip(SKIP_2) | instid1(VALU_DEP_2)
	v_pk_fma_f32 v[16:17], v[6:7], v[14:15], v[12:13] op_sel:[0,0,1] op_sel_hi:[1,1,0]
	s_wait_xcnt 0x1
	v_pk_fma_f32 v[6:7], v[6:7], v[14:15], v[12:13] op_sel:[0,0,1] op_sel_hi:[1,1,0] neg_lo:[0,0,1] neg_hi:[0,0,1]
	v_mov_b32_e32 v7, v17
	s_wait_loadcnt_dscnt 0x0
	s_delay_alu instid0(VALU_DEP_1)
	v_pk_add_f32 v[6:7], v[6:7], v[10:11]
	flat_store_b64 v[8:9], v[6:7]
.LBB103_6:                              ;   in Loop: Header=BB103_4 Depth=1
	v_add_nc_u32_e32 v5, 1, v4
	s_delay_alu instid0(VALU_DEP_1)
	v_cmp_gt_u32_e32 vcc_lo, s2, v5
	s_and_b32 s18, vcc_lo, s14
	s_wait_xcnt 0x0
	s_and_saveexec_b32 s17, s18
	s_cbranch_execz .LBB103_8
; %bb.7:                                ;   in Loop: Header=BB103_4 Depth=1
	s_wait_kmcnt 0x0
	s_clause 0x1
	global_load_b64 v[6:7], v4, s[4:5] offset:8 scale_offset
	global_load_b64 v[8:9], v4, s[8:9] offset:8 scale_offset
	v_mov_b64_e32 v[12:13], s[0:1]
	v_mov_b64_e32 v[14:15], s[12:13]
	s_wait_loadcnt 0x1
	v_lshl_add_u64 v[6:7], s[6:7], 3, v[6:7]
	s_wait_loadcnt 0x0
	v_lshl_add_u64 v[8:9], s[10:11], 3, v[8:9]
	s_delay_alu instid0(VALU_DEP_2) | instskip(NEXT) | instid1(VALU_DEP_2)
	v_lshl_add_u64 v[6:7], v[0:1], 3, v[6:7]
	v_lshl_add_u64 v[8:9], v[2:3], 3, v[8:9]
	flat_load_b64 v[6:7], v[6:7]
	flat_load_b64 v[10:11], v[8:9]
	s_wait_loadcnt_dscnt 0x101
	v_pk_mul_f32 v[12:13], v[6:7], v[12:13]
	s_delay_alu instid0(VALU_DEP_1) | instskip(SKIP_2) | instid1(VALU_DEP_2)
	v_pk_fma_f32 v[16:17], v[6:7], v[14:15], v[12:13] op_sel:[0,0,1] op_sel_hi:[1,1,0]
	s_wait_xcnt 0x1
	v_pk_fma_f32 v[6:7], v[6:7], v[14:15], v[12:13] op_sel:[0,0,1] op_sel_hi:[1,1,0] neg_lo:[0,0,1] neg_hi:[0,0,1]
	v_mov_b32_e32 v7, v17
	s_wait_loadcnt_dscnt 0x0
	s_delay_alu instid0(VALU_DEP_1)
	v_pk_add_f32 v[6:7], v[6:7], v[10:11]
	flat_store_b64 v[8:9], v[6:7]
.LBB103_8:                              ;   in Loop: Header=BB103_4 Depth=1
	s_wait_xcnt 0x0
	s_or_b32 exec_lo, exec_lo, s17
	v_add_nc_u32_e32 v5, 2, v4
	s_delay_alu instid0(VALU_DEP_1) | instskip(SKIP_1) | instid1(SALU_CYCLE_1)
	v_cmp_gt_u32_e32 vcc_lo, s2, v5
	s_and_b32 s18, vcc_lo, s14
	s_and_saveexec_b32 s17, s18
	s_cbranch_execz .LBB103_10
; %bb.9:                                ;   in Loop: Header=BB103_4 Depth=1
	s_wait_kmcnt 0x0
	s_clause 0x1
	global_load_b64 v[6:7], v4, s[4:5] offset:16 scale_offset
	global_load_b64 v[8:9], v4, s[8:9] offset:16 scale_offset
	v_mov_b64_e32 v[12:13], s[0:1]
	v_mov_b64_e32 v[14:15], s[12:13]
	s_wait_loadcnt 0x1
	v_lshl_add_u64 v[6:7], s[6:7], 3, v[6:7]
	s_wait_loadcnt 0x0
	v_lshl_add_u64 v[8:9], s[10:11], 3, v[8:9]
	s_delay_alu instid0(VALU_DEP_2) | instskip(NEXT) | instid1(VALU_DEP_2)
	v_lshl_add_u64 v[6:7], v[0:1], 3, v[6:7]
	v_lshl_add_u64 v[8:9], v[2:3], 3, v[8:9]
	flat_load_b64 v[6:7], v[6:7]
	flat_load_b64 v[10:11], v[8:9]
	s_wait_loadcnt_dscnt 0x101
	v_pk_mul_f32 v[12:13], v[6:7], v[12:13]
	s_delay_alu instid0(VALU_DEP_1) | instskip(SKIP_2) | instid1(VALU_DEP_2)
	v_pk_fma_f32 v[16:17], v[6:7], v[14:15], v[12:13] op_sel:[0,0,1] op_sel_hi:[1,1,0]
	s_wait_xcnt 0x1
	v_pk_fma_f32 v[6:7], v[6:7], v[14:15], v[12:13] op_sel:[0,0,1] op_sel_hi:[1,1,0] neg_lo:[0,0,1] neg_hi:[0,0,1]
	v_mov_b32_e32 v7, v17
	s_wait_loadcnt_dscnt 0x0
	s_delay_alu instid0(VALU_DEP_1)
	v_pk_add_f32 v[6:7], v[6:7], v[10:11]
	flat_store_b64 v[8:9], v[6:7]
.LBB103_10:                             ;   in Loop: Header=BB103_4 Depth=1
	s_wait_xcnt 0x0
	s_or_b32 exec_lo, exec_lo, s17
	v_add_nc_u32_e32 v5, 3, v4
	s_delay_alu instid0(VALU_DEP_1) | instskip(SKIP_1) | instid1(SALU_CYCLE_1)
	v_cmp_gt_u32_e32 vcc_lo, s2, v5
	s_and_b32 s18, vcc_lo, s14
	s_and_saveexec_b32 s17, s18
	s_cbranch_execz .LBB103_3
; %bb.11:                               ;   in Loop: Header=BB103_4 Depth=1
	s_wait_kmcnt 0x0
	s_clause 0x1
	global_load_b64 v[6:7], v4, s[4:5] offset:24 scale_offset
	global_load_b64 v[8:9], v4, s[8:9] offset:24 scale_offset
	v_mov_b64_e32 v[12:13], s[0:1]
	v_mov_b64_e32 v[14:15], s[12:13]
	s_wait_loadcnt 0x1
	v_lshl_add_u64 v[6:7], s[6:7], 3, v[6:7]
	s_wait_loadcnt 0x0
	v_lshl_add_u64 v[8:9], s[10:11], 3, v[8:9]
	s_delay_alu instid0(VALU_DEP_2) | instskip(NEXT) | instid1(VALU_DEP_2)
	v_lshl_add_u64 v[6:7], v[0:1], 3, v[6:7]
	v_lshl_add_u64 v[8:9], v[2:3], 3, v[8:9]
	flat_load_b64 v[6:7], v[6:7]
	flat_load_b64 v[10:11], v[8:9]
	s_wait_loadcnt_dscnt 0x101
	v_pk_mul_f32 v[12:13], v[6:7], v[12:13]
	s_delay_alu instid0(VALU_DEP_1) | instskip(SKIP_2) | instid1(VALU_DEP_2)
	v_pk_fma_f32 v[16:17], v[6:7], v[14:15], v[12:13] op_sel:[0,0,1] op_sel_hi:[1,1,0]
	s_wait_xcnt 0x1
	v_pk_fma_f32 v[6:7], v[6:7], v[14:15], v[12:13] op_sel:[0,0,1] op_sel_hi:[1,1,0] neg_lo:[0,0,1] neg_hi:[0,0,1]
	v_mov_b32_e32 v7, v17
	s_wait_loadcnt_dscnt 0x0
	s_delay_alu instid0(VALU_DEP_1)
	v_pk_add_f32 v[6:7], v[6:7], v[10:11]
	flat_store_b64 v[8:9], v[6:7]
	s_branch .LBB103_3
.LBB103_12:
	s_endpgm
	.section	.rodata,"a",@progbits
	.p2align	6, 0x0
	.amdhsa_kernel _ZL27rocblas_axpy_kernel_batchedIiLi128ELi8E19rocblas_complex_numIfES1_PKPKS1_PKPS1_EviT3_lT4_lT_lT5_lSB_li
		.amdhsa_group_segment_fixed_size 0
		.amdhsa_private_segment_fixed_size 0
		.amdhsa_kernarg_size 352
		.amdhsa_user_sgpr_count 2
		.amdhsa_user_sgpr_dispatch_ptr 0
		.amdhsa_user_sgpr_queue_ptr 0
		.amdhsa_user_sgpr_kernarg_segment_ptr 1
		.amdhsa_user_sgpr_dispatch_id 0
		.amdhsa_user_sgpr_kernarg_preload_length 0
		.amdhsa_user_sgpr_kernarg_preload_offset 0
		.amdhsa_user_sgpr_private_segment_size 0
		.amdhsa_wavefront_size32 1
		.amdhsa_uses_dynamic_stack 0
		.amdhsa_enable_private_segment 0
		.amdhsa_system_sgpr_workgroup_id_x 1
		.amdhsa_system_sgpr_workgroup_id_y 0
		.amdhsa_system_sgpr_workgroup_id_z 1
		.amdhsa_system_sgpr_workgroup_info 0
		.amdhsa_system_vgpr_workitem_id 1
		.amdhsa_next_free_vgpr 18
		.amdhsa_next_free_sgpr 19
		.amdhsa_named_barrier_count 0
		.amdhsa_reserve_vcc 1
		.amdhsa_float_round_mode_32 0
		.amdhsa_float_round_mode_16_64 0
		.amdhsa_float_denorm_mode_32 3
		.amdhsa_float_denorm_mode_16_64 3
		.amdhsa_fp16_overflow 0
		.amdhsa_memory_ordered 1
		.amdhsa_forward_progress 1
		.amdhsa_inst_pref_size 10
		.amdhsa_round_robin_scheduling 0
		.amdhsa_exception_fp_ieee_invalid_op 0
		.amdhsa_exception_fp_denorm_src 0
		.amdhsa_exception_fp_ieee_div_zero 0
		.amdhsa_exception_fp_ieee_overflow 0
		.amdhsa_exception_fp_ieee_underflow 0
		.amdhsa_exception_fp_ieee_inexact 0
		.amdhsa_exception_int_div_zero 0
	.end_amdhsa_kernel
	.section	.text._ZL27rocblas_axpy_kernel_batchedIiLi128ELi8E19rocblas_complex_numIfES1_PKPKS1_PKPS1_EviT3_lT4_lT_lT5_lSB_li,"axG",@progbits,_ZL27rocblas_axpy_kernel_batchedIiLi128ELi8E19rocblas_complex_numIfES1_PKPKS1_PKPS1_EviT3_lT4_lT_lT5_lSB_li,comdat
.Lfunc_end103:
	.size	_ZL27rocblas_axpy_kernel_batchedIiLi128ELi8E19rocblas_complex_numIfES1_PKPKS1_PKPS1_EviT3_lT4_lT_lT5_lSB_li, .Lfunc_end103-_ZL27rocblas_axpy_kernel_batchedIiLi128ELi8E19rocblas_complex_numIfES1_PKPKS1_PKPS1_EviT3_lT4_lT_lT5_lSB_li
                                        ; -- End function
	.set _ZL27rocblas_axpy_kernel_batchedIiLi128ELi8E19rocblas_complex_numIfES1_PKPKS1_PKPS1_EviT3_lT4_lT_lT5_lSB_li.num_vgpr, 18
	.set _ZL27rocblas_axpy_kernel_batchedIiLi128ELi8E19rocblas_complex_numIfES1_PKPKS1_PKPS1_EviT3_lT4_lT_lT5_lSB_li.num_agpr, 0
	.set _ZL27rocblas_axpy_kernel_batchedIiLi128ELi8E19rocblas_complex_numIfES1_PKPKS1_PKPS1_EviT3_lT4_lT_lT5_lSB_li.numbered_sgpr, 19
	.set _ZL27rocblas_axpy_kernel_batchedIiLi128ELi8E19rocblas_complex_numIfES1_PKPKS1_PKPS1_EviT3_lT4_lT_lT5_lSB_li.num_named_barrier, 0
	.set _ZL27rocblas_axpy_kernel_batchedIiLi128ELi8E19rocblas_complex_numIfES1_PKPKS1_PKPS1_EviT3_lT4_lT_lT5_lSB_li.private_seg_size, 0
	.set _ZL27rocblas_axpy_kernel_batchedIiLi128ELi8E19rocblas_complex_numIfES1_PKPKS1_PKPS1_EviT3_lT4_lT_lT5_lSB_li.uses_vcc, 1
	.set _ZL27rocblas_axpy_kernel_batchedIiLi128ELi8E19rocblas_complex_numIfES1_PKPKS1_PKPS1_EviT3_lT4_lT_lT5_lSB_li.uses_flat_scratch, 0
	.set _ZL27rocblas_axpy_kernel_batchedIiLi128ELi8E19rocblas_complex_numIfES1_PKPKS1_PKPS1_EviT3_lT4_lT_lT5_lSB_li.has_dyn_sized_stack, 0
	.set _ZL27rocblas_axpy_kernel_batchedIiLi128ELi8E19rocblas_complex_numIfES1_PKPKS1_PKPS1_EviT3_lT4_lT_lT5_lSB_li.has_recursion, 0
	.set _ZL27rocblas_axpy_kernel_batchedIiLi128ELi8E19rocblas_complex_numIfES1_PKPKS1_PKPS1_EviT3_lT4_lT_lT5_lSB_li.has_indirect_call, 0
	.section	.AMDGPU.csdata,"",@progbits
; Kernel info:
; codeLenInByte = 1160
; TotalNumSgprs: 21
; NumVgprs: 18
; ScratchSize: 0
; MemoryBound: 0
; FloatMode: 240
; IeeeMode: 1
; LDSByteSize: 0 bytes/workgroup (compile time only)
; SGPRBlocks: 0
; VGPRBlocks: 1
; NumSGPRsForWavesPerEU: 21
; NumVGPRsForWavesPerEU: 18
; NamedBarCnt: 0
; Occupancy: 16
; WaveLimiterHint : 1
; COMPUTE_PGM_RSRC2:SCRATCH_EN: 0
; COMPUTE_PGM_RSRC2:USER_SGPR: 2
; COMPUTE_PGM_RSRC2:TRAP_HANDLER: 0
; COMPUTE_PGM_RSRC2:TGID_X_EN: 1
; COMPUTE_PGM_RSRC2:TGID_Y_EN: 0
; COMPUTE_PGM_RSRC2:TGID_Z_EN: 1
; COMPUTE_PGM_RSRC2:TIDIG_COMP_CNT: 1
	.section	.text._ZL19rocblas_axpy_kernelIiLi256E19rocblas_complex_numIfEPKS1_PKS3_PKPS1_EviT2_lT3_lT_lT4_lSB_li,"axG",@progbits,_ZL19rocblas_axpy_kernelIiLi256E19rocblas_complex_numIfEPKS1_PKS3_PKPS1_EviT2_lT3_lT_lT4_lSB_li,comdat
	.globl	_ZL19rocblas_axpy_kernelIiLi256E19rocblas_complex_numIfEPKS1_PKS3_PKPS1_EviT2_lT3_lT_lT4_lSB_li ; -- Begin function _ZL19rocblas_axpy_kernelIiLi256E19rocblas_complex_numIfEPKS1_PKS3_PKPS1_EviT2_lT3_lT_lT4_lSB_li
	.p2align	8
	.type	_ZL19rocblas_axpy_kernelIiLi256E19rocblas_complex_numIfEPKS1_PKS3_PKPS1_EviT2_lT3_lT_lT4_lSB_li,@function
_ZL19rocblas_axpy_kernelIiLi256E19rocblas_complex_numIfEPKS1_PKS3_PKPS1_EviT2_lT3_lT_lT4_lSB_li: ; @_ZL19rocblas_axpy_kernelIiLi256E19rocblas_complex_numIfEPKS1_PKS3_PKPS1_EviT2_lT3_lT_lT4_lSB_li
; %bb.0:
	s_load_b32 s17, s[0:1], 0x58
	s_bfe_u32 s2, ttmp6, 0x40014
	s_lshr_b32 s3, ttmp7, 16
	s_add_co_i32 s2, s2, 1
	s_bfe_u32 s5, ttmp6, 0x40008
	s_mul_i32 s2, s3, s2
	s_getreg_b32 s4, hwreg(HW_REG_IB_STS2, 6, 4)
	s_add_co_i32 s5, s5, s2
	s_cmp_eq_u32 s4, 0
	s_cselect_b32 s2, s3, s5
	s_mov_b32 s3, 0
	s_wait_kmcnt 0x0
	s_cmp_ge_u32 s2, s17
	s_cbranch_scc1 .LBB104_5
; %bb.1:
	s_clause 0x2
	s_load_b32 s18, s[0:1], 0x0
	s_load_b32 s6, s[0:1], 0x48
	;; [unrolled: 1-line block ×3, first 2 shown]
	s_bfe_u32 s5, ttmp6, 0x4000c
	s_and_b32 s7, ttmp6, 15
	s_add_co_i32 s5, s5, 1
	v_mov_b32_e32 v1, 0
	s_mul_i32 s5, ttmp9, s5
	s_delay_alu instid0(SALU_CYCLE_1)
	s_add_co_i32 s5, s7, s5
	s_wait_kmcnt 0x0
	s_ashr_i32 s19, s18, 31
	s_ashr_i32 s7, s6, 31
	;; [unrolled: 1-line block ×3, first 2 shown]
	s_cmp_eq_u32 s4, 0
	s_cselect_b32 s4, ttmp9, s5
	s_delay_alu instid0(SALU_CYCLE_1) | instskip(NEXT) | instid1(VALU_DEP_1)
	v_lshl_or_b32 v0, s4, 8, v0
	v_mul_u64_e32 v[2:3], s[8:9], v[0:1]
	v_mul_u64_e32 v[4:5], s[6:7], v[0:1]
	s_clause 0x1
	s_load_b256 s[4:11], s[0:1], 0x8
	s_load_b128 s[12:15], s[0:1], 0x38
	v_cmp_gt_i64_e32 vcc_lo, s[18:19], v[0:1]
	s_wait_kmcnt 0x0
	s_lshl_b64 s[0:1], s[10:11], 3
	s_lshl_b64 s[10:11], s[14:15], 3
	s_branch .LBB104_3
.LBB104_2:                              ;   in Loop: Header=BB104_3 Depth=1
	s_wait_xcnt 0x0
	s_or_b32 exec_lo, exec_lo, s15
	s_add_co_i32 s2, s2, 0x10000
	s_delay_alu instid0(SALU_CYCLE_1)
	s_cmp_lt_u32 s2, s17
	s_cbranch_scc0 .LBB104_5
.LBB104_3:                              ; =>This Inner Loop Header: Depth=1
	s_mul_u64 s[14:15], s[6:7], s[2:3]
	s_delay_alu instid0(SALU_CYCLE_1) | instskip(NEXT) | instid1(SALU_CYCLE_1)
	s_lshl_b64 s[14:15], s[14:15], 3
	s_add_nc_u64 s[14:15], s[4:5], s[14:15]
	global_load_b64 v[6:7], v1, s[14:15]
	s_wait_loadcnt 0x0
	s_wait_xcnt 0x0
	v_readfirstlane_b32 s14, v6
	v_readfirstlane_b32 s16, v7
	s_or_b32 s15, s14, s16
	s_delay_alu instid0(SALU_CYCLE_1) | instskip(NEXT) | instid1(SALU_CYCLE_1)
	s_bitset0_b32 s15, 31
	s_cmp_lg_u32 s15, 0
	s_cselect_b32 s15, -1, 0
	s_delay_alu instid0(SALU_CYCLE_1) | instskip(NEXT) | instid1(SALU_CYCLE_1)
	s_and_b32 s18, vcc_lo, s15
	s_and_saveexec_b32 s15, s18
	s_cbranch_execz .LBB104_2
; %bb.4:                                ;   in Loop: Header=BB104_3 Depth=1
	s_lshl_b64 s[18:19], s[2:3], 3
	s_delay_alu instid0(SALU_CYCLE_1)
	s_add_nc_u64 s[20:21], s[8:9], s[18:19]
	s_add_nc_u64 s[18:19], s[12:13], s[18:19]
	s_load_b64 s[20:21], s[20:21], 0x0
	s_wait_kmcnt 0x0
	s_wait_xcnt 0x0
	s_add_nc_u64 s[20:21], s[20:21], s[0:1]
	s_load_b64 s[18:19], s[18:19], 0x0
	v_lshl_add_u64 v[6:7], v[2:3], 3, s[20:21]
	flat_load_b64 v[6:7], v[6:7]
	s_wait_kmcnt 0x0
	s_add_nc_u64 s[18:19], s[18:19], s[10:11]
	s_delay_alu instid0(SALU_CYCLE_1) | instskip(SKIP_3) | instid1(VALU_DEP_1)
	v_lshl_add_u64 v[8:9], v[4:5], 3, s[18:19]
	flat_load_b64 v[10:11], v[8:9]
	s_wait_loadcnt_dscnt 0x101
	v_pk_mul_f32 v[12:13], v[6:7], s[16:17] op_sel:[1,0] op_sel_hi:[0,0]
	v_pk_fma_f32 v[14:15], v[6:7], s[14:15], v[12:13] op_sel_hi:[1,0,1]
	v_mov_b32_e32 v0, s14
	s_wait_xcnt 0x1
	s_delay_alu instid0(VALU_DEP_1) | instskip(NEXT) | instid1(VALU_DEP_3)
	v_pk_fma_f32 v[6:7], v[6:7], v[0:1], v[12:13] neg_lo:[0,0,1] neg_hi:[0,0,1]
	v_mov_b32_e32 v7, v15
	s_wait_loadcnt_dscnt 0x0
	s_delay_alu instid0(VALU_DEP_1)
	v_pk_add_f32 v[6:7], v[6:7], v[10:11]
	flat_store_b64 v[8:9], v[6:7]
	s_branch .LBB104_2
.LBB104_5:
	s_endpgm
	.section	.rodata,"a",@progbits
	.p2align	6, 0x0
	.amdhsa_kernel _ZL19rocblas_axpy_kernelIiLi256E19rocblas_complex_numIfEPKS1_PKS3_PKPS1_EviT2_lT3_lT_lT4_lSB_li
		.amdhsa_group_segment_fixed_size 0
		.amdhsa_private_segment_fixed_size 0
		.amdhsa_kernarg_size 92
		.amdhsa_user_sgpr_count 2
		.amdhsa_user_sgpr_dispatch_ptr 0
		.amdhsa_user_sgpr_queue_ptr 0
		.amdhsa_user_sgpr_kernarg_segment_ptr 1
		.amdhsa_user_sgpr_dispatch_id 0
		.amdhsa_user_sgpr_kernarg_preload_length 0
		.amdhsa_user_sgpr_kernarg_preload_offset 0
		.amdhsa_user_sgpr_private_segment_size 0
		.amdhsa_wavefront_size32 1
		.amdhsa_uses_dynamic_stack 0
		.amdhsa_enable_private_segment 0
		.amdhsa_system_sgpr_workgroup_id_x 1
		.amdhsa_system_sgpr_workgroup_id_y 0
		.amdhsa_system_sgpr_workgroup_id_z 1
		.amdhsa_system_sgpr_workgroup_info 0
		.amdhsa_system_vgpr_workitem_id 0
		.amdhsa_next_free_vgpr 16
		.amdhsa_next_free_sgpr 22
		.amdhsa_named_barrier_count 0
		.amdhsa_reserve_vcc 1
		.amdhsa_float_round_mode_32 0
		.amdhsa_float_round_mode_16_64 0
		.amdhsa_float_denorm_mode_32 3
		.amdhsa_float_denorm_mode_16_64 3
		.amdhsa_fp16_overflow 0
		.amdhsa_memory_ordered 1
		.amdhsa_forward_progress 1
		.amdhsa_inst_pref_size 4
		.amdhsa_round_robin_scheduling 0
		.amdhsa_exception_fp_ieee_invalid_op 0
		.amdhsa_exception_fp_denorm_src 0
		.amdhsa_exception_fp_ieee_div_zero 0
		.amdhsa_exception_fp_ieee_overflow 0
		.amdhsa_exception_fp_ieee_underflow 0
		.amdhsa_exception_fp_ieee_inexact 0
		.amdhsa_exception_int_div_zero 0
	.end_amdhsa_kernel
	.section	.text._ZL19rocblas_axpy_kernelIiLi256E19rocblas_complex_numIfEPKS1_PKS3_PKPS1_EviT2_lT3_lT_lT4_lSB_li,"axG",@progbits,_ZL19rocblas_axpy_kernelIiLi256E19rocblas_complex_numIfEPKS1_PKS3_PKPS1_EviT2_lT3_lT_lT4_lSB_li,comdat
.Lfunc_end104:
	.size	_ZL19rocblas_axpy_kernelIiLi256E19rocblas_complex_numIfEPKS1_PKS3_PKPS1_EviT2_lT3_lT_lT4_lSB_li, .Lfunc_end104-_ZL19rocblas_axpy_kernelIiLi256E19rocblas_complex_numIfEPKS1_PKS3_PKPS1_EviT2_lT3_lT_lT4_lSB_li
                                        ; -- End function
	.set _ZL19rocblas_axpy_kernelIiLi256E19rocblas_complex_numIfEPKS1_PKS3_PKPS1_EviT2_lT3_lT_lT4_lSB_li.num_vgpr, 16
	.set _ZL19rocblas_axpy_kernelIiLi256E19rocblas_complex_numIfEPKS1_PKS3_PKPS1_EviT2_lT3_lT_lT4_lSB_li.num_agpr, 0
	.set _ZL19rocblas_axpy_kernelIiLi256E19rocblas_complex_numIfEPKS1_PKS3_PKPS1_EviT2_lT3_lT_lT4_lSB_li.numbered_sgpr, 22
	.set _ZL19rocblas_axpy_kernelIiLi256E19rocblas_complex_numIfEPKS1_PKS3_PKPS1_EviT2_lT3_lT_lT4_lSB_li.num_named_barrier, 0
	.set _ZL19rocblas_axpy_kernelIiLi256E19rocblas_complex_numIfEPKS1_PKS3_PKPS1_EviT2_lT3_lT_lT4_lSB_li.private_seg_size, 0
	.set _ZL19rocblas_axpy_kernelIiLi256E19rocblas_complex_numIfEPKS1_PKS3_PKPS1_EviT2_lT3_lT_lT4_lSB_li.uses_vcc, 1
	.set _ZL19rocblas_axpy_kernelIiLi256E19rocblas_complex_numIfEPKS1_PKS3_PKPS1_EviT2_lT3_lT_lT4_lSB_li.uses_flat_scratch, 0
	.set _ZL19rocblas_axpy_kernelIiLi256E19rocblas_complex_numIfEPKS1_PKS3_PKPS1_EviT2_lT3_lT_lT4_lSB_li.has_dyn_sized_stack, 0
	.set _ZL19rocblas_axpy_kernelIiLi256E19rocblas_complex_numIfEPKS1_PKS3_PKPS1_EviT2_lT3_lT_lT4_lSB_li.has_recursion, 0
	.set _ZL19rocblas_axpy_kernelIiLi256E19rocblas_complex_numIfEPKS1_PKS3_PKPS1_EviT2_lT3_lT_lT4_lSB_li.has_indirect_call, 0
	.section	.AMDGPU.csdata,"",@progbits
; Kernel info:
; codeLenInByte = 496
; TotalNumSgprs: 24
; NumVgprs: 16
; ScratchSize: 0
; MemoryBound: 0
; FloatMode: 240
; IeeeMode: 1
; LDSByteSize: 0 bytes/workgroup (compile time only)
; SGPRBlocks: 0
; VGPRBlocks: 0
; NumSGPRsForWavesPerEU: 24
; NumVGPRsForWavesPerEU: 16
; NamedBarCnt: 0
; Occupancy: 16
; WaveLimiterHint : 1
; COMPUTE_PGM_RSRC2:SCRATCH_EN: 0
; COMPUTE_PGM_RSRC2:USER_SGPR: 2
; COMPUTE_PGM_RSRC2:TRAP_HANDLER: 0
; COMPUTE_PGM_RSRC2:TGID_X_EN: 1
; COMPUTE_PGM_RSRC2:TGID_Y_EN: 0
; COMPUTE_PGM_RSRC2:TGID_Z_EN: 1
; COMPUTE_PGM_RSRC2:TIDIG_COMP_CNT: 0
	.section	.text._ZL19rocblas_axpy_kernelIiLi256E19rocblas_complex_numIfES1_PKPKS1_PKPS1_EviT2_lT3_lT_lT4_lSB_li,"axG",@progbits,_ZL19rocblas_axpy_kernelIiLi256E19rocblas_complex_numIfES1_PKPKS1_PKPS1_EviT2_lT3_lT_lT4_lSB_li,comdat
	.globl	_ZL19rocblas_axpy_kernelIiLi256E19rocblas_complex_numIfES1_PKPKS1_PKPS1_EviT2_lT3_lT_lT4_lSB_li ; -- Begin function _ZL19rocblas_axpy_kernelIiLi256E19rocblas_complex_numIfES1_PKPKS1_PKPS1_EviT2_lT3_lT_lT4_lSB_li
	.p2align	8
	.type	_ZL19rocblas_axpy_kernelIiLi256E19rocblas_complex_numIfES1_PKPKS1_PKPS1_EviT2_lT3_lT_lT4_lSB_li,@function
_ZL19rocblas_axpy_kernelIiLi256E19rocblas_complex_numIfES1_PKPKS1_PKPS1_EviT2_lT3_lT_lT4_lSB_li: ; @_ZL19rocblas_axpy_kernelIiLi256E19rocblas_complex_numIfES1_PKPKS1_PKPS1_EviT2_lT3_lT_lT4_lSB_li
; %bb.0:
	s_load_b32 s12, s[0:1], 0x58
	s_bfe_u32 s2, ttmp6, 0x40014
	s_lshr_b32 s3, ttmp7, 16
	s_add_co_i32 s2, s2, 1
	s_bfe_u32 s5, ttmp6, 0x40008
	s_mul_i32 s2, s3, s2
	s_getreg_b32 s4, hwreg(HW_REG_IB_STS2, 6, 4)
	s_add_co_i32 s5, s5, s2
	s_cmp_eq_u32 s4, 0
	s_cselect_b32 s13, s3, s5
	s_wait_kmcnt 0x0
	s_cmp_ge_u32 s13, s12
	s_cbranch_scc1 .LBB105_5
; %bb.1:
	s_clause 0x2
	s_load_b32 s14, s[0:1], 0x0
	s_load_b32 s6, s[0:1], 0x28
	;; [unrolled: 1-line block ×3, first 2 shown]
	s_bfe_u32 s2, ttmp6, 0x4000c
	s_and_b32 s5, ttmp6, 15
	s_add_co_i32 s2, s2, 1
	v_mov_b32_e32 v5, 0
	s_mul_i32 s7, ttmp9, s2
	s_load_b64 s[2:3], s[0:1], 0x4
	s_add_co_i32 s5, s5, s7
	s_wait_kmcnt 0x0
	s_ashr_i32 s15, s14, 31
	s_ashr_i32 s7, s6, 31
	s_ashr_i32 s9, s8, 31
	s_cmp_eq_u32 s4, 0
	s_cselect_b32 s4, ttmp9, s5
	s_delay_alu instid0(SALU_CYCLE_1) | instskip(NEXT) | instid1(VALU_DEP_1)
	v_lshl_or_b32 v4, s4, 8, v0
	v_mul_u64_e32 v[0:1], s[6:7], v[4:5]
	v_mul_u64_e32 v[2:3], s[8:9], v[4:5]
	s_clause 0x1
	s_load_b128 s[4:7], s[0:1], 0x18
	s_load_b128 s[8:11], s[0:1], 0x38
	s_wait_xcnt 0x0
	s_or_b32 s0, s2, s3
	v_cmp_gt_i64_e32 vcc_lo, s[14:15], v[4:5]
	s_bitset0_b32 s0, 31
	s_mov_b32 s1, s2
	s_cmp_lg_u32 s0, 0
	s_cselect_b32 s0, -1, 0
	s_delay_alu instid0(SALU_CYCLE_1)
	s_and_b32 s14, vcc_lo, s0
	s_mov_b32 s0, s2
	s_mov_b32 s2, s3
	s_wait_kmcnt 0x0
	s_lshl_b64 s[6:7], s[6:7], 3
	s_lshl_b64 s[10:11], s[10:11], 3
	s_branch .LBB105_3
.LBB105_2:                              ;   in Loop: Header=BB105_3 Depth=1
	s_wait_xcnt 0x0
	s_or_b32 exec_lo, exec_lo, s15
	s_add_co_i32 s13, s13, 0x10000
	s_delay_alu instid0(SALU_CYCLE_1)
	s_cmp_lt_u32 s13, s12
	s_cbranch_scc0 .LBB105_5
.LBB105_3:                              ; =>This Inner Loop Header: Depth=1
	s_and_saveexec_b32 s15, s14
	s_cbranch_execz .LBB105_2
; %bb.4:                                ;   in Loop: Header=BB105_3 Depth=1
	s_load_b64 s[16:17], s[4:5], s13 offset:0x0 scale_offset
	s_load_b64 s[18:19], s[8:9], s13 offset:0x0 scale_offset
	v_mov_b64_e32 v[10:11], s[2:3]
	v_mov_b64_e32 v[12:13], s[0:1]
	s_wait_kmcnt 0x0
	s_add_nc_u64 s[16:17], s[16:17], s[6:7]
	s_delay_alu instid0(SALU_CYCLE_1) | instskip(SKIP_1) | instid1(SALU_CYCLE_1)
	v_lshl_add_u64 v[4:5], v[0:1], 3, s[16:17]
	s_add_nc_u64 s[16:17], s[18:19], s[10:11]
	v_lshl_add_u64 v[6:7], v[2:3], 3, s[16:17]
	flat_load_b64 v[4:5], v[4:5]
	flat_load_b64 v[8:9], v[6:7]
	s_wait_loadcnt_dscnt 0x101
	v_pk_mul_f32 v[10:11], v[4:5], v[10:11] op_sel:[1,0] op_sel_hi:[0,1]
	s_delay_alu instid0(VALU_DEP_1) | instskip(SKIP_2) | instid1(VALU_DEP_2)
	v_pk_fma_f32 v[14:15], v[4:5], v[12:13], v[10:11]
	s_wait_xcnt 0x1
	v_pk_fma_f32 v[4:5], v[4:5], v[12:13], v[10:11] neg_lo:[0,0,1] neg_hi:[0,0,1]
	v_mov_b32_e32 v5, v15
	s_wait_loadcnt_dscnt 0x0
	s_delay_alu instid0(VALU_DEP_1)
	v_pk_add_f32 v[4:5], v[4:5], v[8:9]
	flat_store_b64 v[6:7], v[4:5]
	s_branch .LBB105_2
.LBB105_5:
	s_endpgm
	.section	.rodata,"a",@progbits
	.p2align	6, 0x0
	.amdhsa_kernel _ZL19rocblas_axpy_kernelIiLi256E19rocblas_complex_numIfES1_PKPKS1_PKPS1_EviT2_lT3_lT_lT4_lSB_li
		.amdhsa_group_segment_fixed_size 0
		.amdhsa_private_segment_fixed_size 0
		.amdhsa_kernarg_size 92
		.amdhsa_user_sgpr_count 2
		.amdhsa_user_sgpr_dispatch_ptr 0
		.amdhsa_user_sgpr_queue_ptr 0
		.amdhsa_user_sgpr_kernarg_segment_ptr 1
		.amdhsa_user_sgpr_dispatch_id 0
		.amdhsa_user_sgpr_kernarg_preload_length 0
		.amdhsa_user_sgpr_kernarg_preload_offset 0
		.amdhsa_user_sgpr_private_segment_size 0
		.amdhsa_wavefront_size32 1
		.amdhsa_uses_dynamic_stack 0
		.amdhsa_enable_private_segment 0
		.amdhsa_system_sgpr_workgroup_id_x 1
		.amdhsa_system_sgpr_workgroup_id_y 0
		.amdhsa_system_sgpr_workgroup_id_z 1
		.amdhsa_system_sgpr_workgroup_info 0
		.amdhsa_system_vgpr_workitem_id 0
		.amdhsa_next_free_vgpr 16
		.amdhsa_next_free_sgpr 20
		.amdhsa_named_barrier_count 0
		.amdhsa_reserve_vcc 1
		.amdhsa_float_round_mode_32 0
		.amdhsa_float_round_mode_16_64 0
		.amdhsa_float_denorm_mode_32 3
		.amdhsa_float_denorm_mode_16_64 3
		.amdhsa_fp16_overflow 0
		.amdhsa_memory_ordered 1
		.amdhsa_forward_progress 1
		.amdhsa_inst_pref_size 4
		.amdhsa_round_robin_scheduling 0
		.amdhsa_exception_fp_ieee_invalid_op 0
		.amdhsa_exception_fp_denorm_src 0
		.amdhsa_exception_fp_ieee_div_zero 0
		.amdhsa_exception_fp_ieee_overflow 0
		.amdhsa_exception_fp_ieee_underflow 0
		.amdhsa_exception_fp_ieee_inexact 0
		.amdhsa_exception_int_div_zero 0
	.end_amdhsa_kernel
	.section	.text._ZL19rocblas_axpy_kernelIiLi256E19rocblas_complex_numIfES1_PKPKS1_PKPS1_EviT2_lT3_lT_lT4_lSB_li,"axG",@progbits,_ZL19rocblas_axpy_kernelIiLi256E19rocblas_complex_numIfES1_PKPKS1_PKPS1_EviT2_lT3_lT_lT4_lSB_li,comdat
.Lfunc_end105:
	.size	_ZL19rocblas_axpy_kernelIiLi256E19rocblas_complex_numIfES1_PKPKS1_PKPS1_EviT2_lT3_lT_lT4_lSB_li, .Lfunc_end105-_ZL19rocblas_axpy_kernelIiLi256E19rocblas_complex_numIfES1_PKPKS1_PKPS1_EviT2_lT3_lT_lT4_lSB_li
                                        ; -- End function
	.set _ZL19rocblas_axpy_kernelIiLi256E19rocblas_complex_numIfES1_PKPKS1_PKPS1_EviT2_lT3_lT_lT4_lSB_li.num_vgpr, 16
	.set _ZL19rocblas_axpy_kernelIiLi256E19rocblas_complex_numIfES1_PKPKS1_PKPS1_EviT2_lT3_lT_lT4_lSB_li.num_agpr, 0
	.set _ZL19rocblas_axpy_kernelIiLi256E19rocblas_complex_numIfES1_PKPKS1_PKPS1_EviT2_lT3_lT_lT4_lSB_li.numbered_sgpr, 20
	.set _ZL19rocblas_axpy_kernelIiLi256E19rocblas_complex_numIfES1_PKPKS1_PKPS1_EviT2_lT3_lT_lT4_lSB_li.num_named_barrier, 0
	.set _ZL19rocblas_axpy_kernelIiLi256E19rocblas_complex_numIfES1_PKPKS1_PKPS1_EviT2_lT3_lT_lT4_lSB_li.private_seg_size, 0
	.set _ZL19rocblas_axpy_kernelIiLi256E19rocblas_complex_numIfES1_PKPKS1_PKPS1_EviT2_lT3_lT_lT4_lSB_li.uses_vcc, 1
	.set _ZL19rocblas_axpy_kernelIiLi256E19rocblas_complex_numIfES1_PKPKS1_PKPS1_EviT2_lT3_lT_lT4_lSB_li.uses_flat_scratch, 0
	.set _ZL19rocblas_axpy_kernelIiLi256E19rocblas_complex_numIfES1_PKPKS1_PKPS1_EviT2_lT3_lT_lT4_lSB_li.has_dyn_sized_stack, 0
	.set _ZL19rocblas_axpy_kernelIiLi256E19rocblas_complex_numIfES1_PKPKS1_PKPS1_EviT2_lT3_lT_lT4_lSB_li.has_recursion, 0
	.set _ZL19rocblas_axpy_kernelIiLi256E19rocblas_complex_numIfES1_PKPKS1_PKPS1_EviT2_lT3_lT_lT4_lSB_li.has_indirect_call, 0
	.section	.AMDGPU.csdata,"",@progbits
; Kernel info:
; codeLenInByte = 444
; TotalNumSgprs: 22
; NumVgprs: 16
; ScratchSize: 0
; MemoryBound: 0
; FloatMode: 240
; IeeeMode: 1
; LDSByteSize: 0 bytes/workgroup (compile time only)
; SGPRBlocks: 0
; VGPRBlocks: 0
; NumSGPRsForWavesPerEU: 22
; NumVGPRsForWavesPerEU: 16
; NamedBarCnt: 0
; Occupancy: 16
; WaveLimiterHint : 1
; COMPUTE_PGM_RSRC2:SCRATCH_EN: 0
; COMPUTE_PGM_RSRC2:USER_SGPR: 2
; COMPUTE_PGM_RSRC2:TRAP_HANDLER: 0
; COMPUTE_PGM_RSRC2:TGID_X_EN: 1
; COMPUTE_PGM_RSRC2:TGID_Y_EN: 0
; COMPUTE_PGM_RSRC2:TGID_Z_EN: 1
; COMPUTE_PGM_RSRC2:TIDIG_COMP_CNT: 0
	.section	.text._ZL19rocblas_axpy_kernelIlLi256E19rocblas_complex_numIfEPKS1_PKS3_PKPS1_EviT2_lT3_lT_lT4_lSB_li,"axG",@progbits,_ZL19rocblas_axpy_kernelIlLi256E19rocblas_complex_numIfEPKS1_PKS3_PKPS1_EviT2_lT3_lT_lT4_lSB_li,comdat
	.globl	_ZL19rocblas_axpy_kernelIlLi256E19rocblas_complex_numIfEPKS1_PKS3_PKPS1_EviT2_lT3_lT_lT4_lSB_li ; -- Begin function _ZL19rocblas_axpy_kernelIlLi256E19rocblas_complex_numIfEPKS1_PKS3_PKPS1_EviT2_lT3_lT_lT4_lSB_li
	.p2align	8
	.type	_ZL19rocblas_axpy_kernelIlLi256E19rocblas_complex_numIfEPKS1_PKS3_PKPS1_EviT2_lT3_lT_lT4_lSB_li,@function
_ZL19rocblas_axpy_kernelIlLi256E19rocblas_complex_numIfEPKS1_PKS3_PKPS1_EviT2_lT3_lT_lT4_lSB_li: ; @_ZL19rocblas_axpy_kernelIlLi256E19rocblas_complex_numIfEPKS1_PKS3_PKPS1_EviT2_lT3_lT_lT4_lSB_li
; %bb.0:
	s_load_b32 s15, s[0:1], 0x58
	s_bfe_u32 s2, ttmp6, 0x40014
	s_lshr_b32 s3, ttmp7, 16
	s_add_co_i32 s2, s2, 1
	s_bfe_u32 s4, ttmp6, 0x40008
	s_mul_i32 s2, s3, s2
	s_getreg_b32 s8, hwreg(HW_REG_IB_STS2, 6, 4)
	s_add_co_i32 s4, s4, s2
	s_cmp_eq_u32 s8, 0
	s_cselect_b32 s2, s3, s4
	s_mov_b32 s3, 0
	s_wait_kmcnt 0x0
	s_cmp_ge_u32 s2, s15
	s_cbranch_scc1 .LBB106_5
; %bb.1:
	s_clause 0x2
	s_load_b32 s12, s[0:1], 0x0
	s_load_b128 s[16:19], s[0:1], 0x20
	s_load_b128 s[20:23], s[0:1], 0x40
	s_bfe_u32 s4, ttmp6, 0x4000c
	s_and_b32 s9, ttmp6, 15
	s_add_co_i32 s4, s4, 1
	v_mov_b32_e32 v1, 0
	s_mul_i32 s10, ttmp9, s4
	s_load_b128 s[4:7], s[0:1], 0x8
	s_add_co_i32 s9, s9, s10
	s_wait_kmcnt 0x0
	s_ashr_i32 s13, s12, 31
	s_cmp_eq_u32 s8, 0
	s_cselect_b32 s8, ttmp9, s9
	s_delay_alu instid0(SALU_CYCLE_1)
	v_lshl_or_b32 v0, s8, 8, v0
	s_clause 0x1
	s_load_b64 s[8:9], s[0:1], 0x18
	s_load_b64 s[10:11], s[0:1], 0x38
	s_wait_xcnt 0x0
	s_lshl_b64 s[0:1], s[16:17], 3
	v_mul_u64_e32 v[2:3], s[18:19], v[0:1]
	v_mul_u64_e32 v[4:5], s[22:23], v[0:1]
	v_cmp_gt_i64_e32 vcc_lo, s[12:13], v[0:1]
	s_lshl_b64 s[12:13], s[20:21], 3
	s_branch .LBB106_3
.LBB106_2:                              ;   in Loop: Header=BB106_3 Depth=1
	s_wait_xcnt 0x0
	s_or_b32 exec_lo, exec_lo, s17
	s_add_co_i32 s2, s2, 0x10000
	s_delay_alu instid0(SALU_CYCLE_1)
	s_cmp_lt_u32 s2, s15
	s_cbranch_scc0 .LBB106_5
.LBB106_3:                              ; =>This Inner Loop Header: Depth=1
	s_mul_u64 s[16:17], s[6:7], s[2:3]
	s_delay_alu instid0(SALU_CYCLE_1) | instskip(NEXT) | instid1(SALU_CYCLE_1)
	s_lshl_b64 s[16:17], s[16:17], 3
	s_add_nc_u64 s[16:17], s[4:5], s[16:17]
	global_load_b64 v[6:7], v1, s[16:17]
	s_wait_loadcnt 0x0
	v_readfirstlane_b32 s14, v6
	s_wait_xcnt 0x0
	v_readfirstlane_b32 s16, v7
	s_or_b32 s17, s14, s16
	s_delay_alu instid0(SALU_CYCLE_1) | instskip(NEXT) | instid1(SALU_CYCLE_1)
	s_bitset0_b32 s17, 31
	s_cmp_lg_u32 s17, 0
	s_cselect_b32 s17, -1, 0
	s_delay_alu instid0(SALU_CYCLE_1) | instskip(NEXT) | instid1(SALU_CYCLE_1)
	s_and_b32 s18, vcc_lo, s17
	s_and_saveexec_b32 s17, s18
	s_cbranch_execz .LBB106_2
; %bb.4:                                ;   in Loop: Header=BB106_3 Depth=1
	s_lshl_b64 s[18:19], s[2:3], 3
	s_wait_kmcnt 0x0
	s_add_nc_u64 s[20:21], s[8:9], s[18:19]
	s_add_nc_u64 s[18:19], s[10:11], s[18:19]
	s_load_b64 s[20:21], s[20:21], 0x0
	s_wait_kmcnt 0x0
	s_wait_xcnt 0x0
	s_add_nc_u64 s[20:21], s[20:21], s[0:1]
	s_load_b64 s[18:19], s[18:19], 0x0
	v_lshl_add_u64 v[6:7], v[2:3], 3, s[20:21]
	flat_load_b64 v[6:7], v[6:7]
	s_wait_kmcnt 0x0
	s_add_nc_u64 s[18:19], s[18:19], s[12:13]
	s_delay_alu instid0(SALU_CYCLE_1) | instskip(SKIP_3) | instid1(VALU_DEP_1)
	v_lshl_add_u64 v[8:9], v[4:5], 3, s[18:19]
	flat_load_b64 v[10:11], v[8:9]
	s_wait_loadcnt_dscnt 0x101
	v_pk_mul_f32 v[12:13], v[6:7], s[16:17] op_sel:[1,0] op_sel_hi:[0,0]
	v_pk_fma_f32 v[14:15], v[6:7], s[14:15], v[12:13] op_sel_hi:[1,0,1]
	v_mov_b32_e32 v0, s14
	s_wait_xcnt 0x1
	s_delay_alu instid0(VALU_DEP_1) | instskip(NEXT) | instid1(VALU_DEP_3)
	v_pk_fma_f32 v[6:7], v[6:7], v[0:1], v[12:13] neg_lo:[0,0,1] neg_hi:[0,0,1]
	v_mov_b32_e32 v7, v15
	s_wait_loadcnt_dscnt 0x0
	s_delay_alu instid0(VALU_DEP_1)
	v_pk_add_f32 v[6:7], v[6:7], v[10:11]
	flat_store_b64 v[8:9], v[6:7]
	s_branch .LBB106_2
.LBB106_5:
	s_endpgm
	.section	.rodata,"a",@progbits
	.p2align	6, 0x0
	.amdhsa_kernel _ZL19rocblas_axpy_kernelIlLi256E19rocblas_complex_numIfEPKS1_PKS3_PKPS1_EviT2_lT3_lT_lT4_lSB_li
		.amdhsa_group_segment_fixed_size 0
		.amdhsa_private_segment_fixed_size 0
		.amdhsa_kernarg_size 92
		.amdhsa_user_sgpr_count 2
		.amdhsa_user_sgpr_dispatch_ptr 0
		.amdhsa_user_sgpr_queue_ptr 0
		.amdhsa_user_sgpr_kernarg_segment_ptr 1
		.amdhsa_user_sgpr_dispatch_id 0
		.amdhsa_user_sgpr_kernarg_preload_length 0
		.amdhsa_user_sgpr_kernarg_preload_offset 0
		.amdhsa_user_sgpr_private_segment_size 0
		.amdhsa_wavefront_size32 1
		.amdhsa_uses_dynamic_stack 0
		.amdhsa_enable_private_segment 0
		.amdhsa_system_sgpr_workgroup_id_x 1
		.amdhsa_system_sgpr_workgroup_id_y 0
		.amdhsa_system_sgpr_workgroup_id_z 1
		.amdhsa_system_sgpr_workgroup_info 0
		.amdhsa_system_vgpr_workitem_id 0
		.amdhsa_next_free_vgpr 16
		.amdhsa_next_free_sgpr 24
		.amdhsa_named_barrier_count 0
		.amdhsa_reserve_vcc 1
		.amdhsa_float_round_mode_32 0
		.amdhsa_float_round_mode_16_64 0
		.amdhsa_float_denorm_mode_32 3
		.amdhsa_float_denorm_mode_16_64 3
		.amdhsa_fp16_overflow 0
		.amdhsa_memory_ordered 1
		.amdhsa_forward_progress 1
		.amdhsa_inst_pref_size 4
		.amdhsa_round_robin_scheduling 0
		.amdhsa_exception_fp_ieee_invalid_op 0
		.amdhsa_exception_fp_denorm_src 0
		.amdhsa_exception_fp_ieee_div_zero 0
		.amdhsa_exception_fp_ieee_overflow 0
		.amdhsa_exception_fp_ieee_underflow 0
		.amdhsa_exception_fp_ieee_inexact 0
		.amdhsa_exception_int_div_zero 0
	.end_amdhsa_kernel
	.section	.text._ZL19rocblas_axpy_kernelIlLi256E19rocblas_complex_numIfEPKS1_PKS3_PKPS1_EviT2_lT3_lT_lT4_lSB_li,"axG",@progbits,_ZL19rocblas_axpy_kernelIlLi256E19rocblas_complex_numIfEPKS1_PKS3_PKPS1_EviT2_lT3_lT_lT4_lSB_li,comdat
.Lfunc_end106:
	.size	_ZL19rocblas_axpy_kernelIlLi256E19rocblas_complex_numIfEPKS1_PKS3_PKPS1_EviT2_lT3_lT_lT4_lSB_li, .Lfunc_end106-_ZL19rocblas_axpy_kernelIlLi256E19rocblas_complex_numIfEPKS1_PKS3_PKPS1_EviT2_lT3_lT_lT4_lSB_li
                                        ; -- End function
	.set _ZL19rocblas_axpy_kernelIlLi256E19rocblas_complex_numIfEPKS1_PKS3_PKPS1_EviT2_lT3_lT_lT4_lSB_li.num_vgpr, 16
	.set _ZL19rocblas_axpy_kernelIlLi256E19rocblas_complex_numIfEPKS1_PKS3_PKPS1_EviT2_lT3_lT_lT4_lSB_li.num_agpr, 0
	.set _ZL19rocblas_axpy_kernelIlLi256E19rocblas_complex_numIfEPKS1_PKS3_PKPS1_EviT2_lT3_lT_lT4_lSB_li.numbered_sgpr, 24
	.set _ZL19rocblas_axpy_kernelIlLi256E19rocblas_complex_numIfEPKS1_PKS3_PKPS1_EviT2_lT3_lT_lT4_lSB_li.num_named_barrier, 0
	.set _ZL19rocblas_axpy_kernelIlLi256E19rocblas_complex_numIfEPKS1_PKS3_PKPS1_EviT2_lT3_lT_lT4_lSB_li.private_seg_size, 0
	.set _ZL19rocblas_axpy_kernelIlLi256E19rocblas_complex_numIfEPKS1_PKS3_PKPS1_EviT2_lT3_lT_lT4_lSB_li.uses_vcc, 1
	.set _ZL19rocblas_axpy_kernelIlLi256E19rocblas_complex_numIfEPKS1_PKS3_PKPS1_EviT2_lT3_lT_lT4_lSB_li.uses_flat_scratch, 0
	.set _ZL19rocblas_axpy_kernelIlLi256E19rocblas_complex_numIfEPKS1_PKS3_PKPS1_EviT2_lT3_lT_lT4_lSB_li.has_dyn_sized_stack, 0
	.set _ZL19rocblas_axpy_kernelIlLi256E19rocblas_complex_numIfEPKS1_PKS3_PKPS1_EviT2_lT3_lT_lT4_lSB_li.has_recursion, 0
	.set _ZL19rocblas_axpy_kernelIlLi256E19rocblas_complex_numIfEPKS1_PKS3_PKPS1_EviT2_lT3_lT_lT4_lSB_li.has_indirect_call, 0
	.section	.AMDGPU.csdata,"",@progbits
; Kernel info:
; codeLenInByte = 492
; TotalNumSgprs: 26
; NumVgprs: 16
; ScratchSize: 0
; MemoryBound: 0
; FloatMode: 240
; IeeeMode: 1
; LDSByteSize: 0 bytes/workgroup (compile time only)
; SGPRBlocks: 0
; VGPRBlocks: 0
; NumSGPRsForWavesPerEU: 26
; NumVGPRsForWavesPerEU: 16
; NamedBarCnt: 0
; Occupancy: 16
; WaveLimiterHint : 1
; COMPUTE_PGM_RSRC2:SCRATCH_EN: 0
; COMPUTE_PGM_RSRC2:USER_SGPR: 2
; COMPUTE_PGM_RSRC2:TRAP_HANDLER: 0
; COMPUTE_PGM_RSRC2:TGID_X_EN: 1
; COMPUTE_PGM_RSRC2:TGID_Y_EN: 0
; COMPUTE_PGM_RSRC2:TGID_Z_EN: 1
; COMPUTE_PGM_RSRC2:TIDIG_COMP_CNT: 0
	.section	.text._ZL19rocblas_axpy_kernelIlLi256E19rocblas_complex_numIfES1_PKPKS1_PKPS1_EviT2_lT3_lT_lT4_lSB_li,"axG",@progbits,_ZL19rocblas_axpy_kernelIlLi256E19rocblas_complex_numIfES1_PKPKS1_PKPS1_EviT2_lT3_lT_lT4_lSB_li,comdat
	.globl	_ZL19rocblas_axpy_kernelIlLi256E19rocblas_complex_numIfES1_PKPKS1_PKPS1_EviT2_lT3_lT_lT4_lSB_li ; -- Begin function _ZL19rocblas_axpy_kernelIlLi256E19rocblas_complex_numIfES1_PKPKS1_PKPS1_EviT2_lT3_lT_lT4_lSB_li
	.p2align	8
	.type	_ZL19rocblas_axpy_kernelIlLi256E19rocblas_complex_numIfES1_PKPKS1_PKPS1_EviT2_lT3_lT_lT4_lSB_li,@function
_ZL19rocblas_axpy_kernelIlLi256E19rocblas_complex_numIfES1_PKPKS1_PKPS1_EviT2_lT3_lT_lT4_lSB_li: ; @_ZL19rocblas_axpy_kernelIlLi256E19rocblas_complex_numIfES1_PKPKS1_PKPS1_EviT2_lT3_lT_lT4_lSB_li
; %bb.0:
	s_load_b32 s12, s[0:1], 0x58
	s_bfe_u32 s2, ttmp6, 0x40014
	s_lshr_b32 s3, ttmp7, 16
	s_add_co_i32 s2, s2, 1
	s_bfe_u32 s4, ttmp6, 0x40008
	s_mul_i32 s2, s3, s2
	s_getreg_b32 s8, hwreg(HW_REG_IB_STS2, 6, 4)
	s_add_co_i32 s4, s4, s2
	s_cmp_eq_u32 s8, 0
	s_cselect_b32 s13, s3, s4
	s_wait_kmcnt 0x0
	s_cmp_ge_u32 s13, s12
	s_cbranch_scc1 .LBB107_5
; %bb.1:
	s_clause 0x2
	s_load_b32 s10, s[0:1], 0x0
	s_load_b128 s[4:7], s[0:1], 0x20
	s_load_b128 s[16:19], s[0:1], 0x40
	s_bfe_u32 s2, ttmp6, 0x4000c
	s_and_b32 s9, ttmp6, 15
	s_add_co_i32 s2, s2, 1
	v_mov_b32_e32 v5, 0
	s_mul_i32 s11, ttmp9, s2
	s_load_b64 s[2:3], s[0:1], 0x4
	s_add_co_i32 s9, s9, s11
	s_wait_kmcnt 0x0
	s_ashr_i32 s11, s10, 31
	s_cmp_eq_u32 s8, 0
	s_cselect_b32 s8, ttmp9, s9
	s_delay_alu instid0(SALU_CYCLE_1) | instskip(NEXT) | instid1(VALU_DEP_1)
	v_lshl_or_b32 v4, s8, 8, v0
	v_mul_u64_e32 v[0:1], s[6:7], v[4:5]
	v_mul_u64_e32 v[2:3], s[18:19], v[4:5]
	s_clause 0x1
	s_load_b64 s[6:7], s[0:1], 0x18
	s_load_b64 s[8:9], s[0:1], 0x38
	s_wait_xcnt 0x0
	s_or_b32 s0, s2, s3
	v_cmp_gt_i64_e32 vcc_lo, s[10:11], v[4:5]
	s_bitset0_b32 s0, 31
	s_mov_b32 s1, s2
	s_cmp_lg_u32 s0, 0
	s_cselect_b32 s0, -1, 0
	s_lshl_b64 s[4:5], s[4:5], 3
	s_and_b32 s14, vcc_lo, s0
	s_mov_b32 s0, s2
	s_mov_b32 s2, s3
	s_lshl_b64 s[10:11], s[16:17], 3
	s_branch .LBB107_3
.LBB107_2:                              ;   in Loop: Header=BB107_3 Depth=1
	s_wait_xcnt 0x0
	s_or_b32 exec_lo, exec_lo, s15
	s_add_co_i32 s13, s13, 0x10000
	s_delay_alu instid0(SALU_CYCLE_1)
	s_cmp_lt_u32 s13, s12
	s_cbranch_scc0 .LBB107_5
.LBB107_3:                              ; =>This Inner Loop Header: Depth=1
	s_and_saveexec_b32 s15, s14
	s_cbranch_execz .LBB107_2
; %bb.4:                                ;   in Loop: Header=BB107_3 Depth=1
	s_wait_kmcnt 0x0
	s_load_b64 s[16:17], s[6:7], s13 offset:0x0 scale_offset
	s_load_b64 s[18:19], s[8:9], s13 offset:0x0 scale_offset
	v_mov_b64_e32 v[10:11], s[2:3]
	v_mov_b64_e32 v[12:13], s[0:1]
	s_wait_kmcnt 0x0
	s_add_nc_u64 s[16:17], s[16:17], s[4:5]
	s_delay_alu instid0(SALU_CYCLE_1) | instskip(SKIP_1) | instid1(SALU_CYCLE_1)
	v_lshl_add_u64 v[4:5], v[0:1], 3, s[16:17]
	s_add_nc_u64 s[16:17], s[18:19], s[10:11]
	v_lshl_add_u64 v[6:7], v[2:3], 3, s[16:17]
	flat_load_b64 v[4:5], v[4:5]
	flat_load_b64 v[8:9], v[6:7]
	s_wait_loadcnt_dscnt 0x101
	v_pk_mul_f32 v[10:11], v[4:5], v[10:11] op_sel:[1,0] op_sel_hi:[0,1]
	s_delay_alu instid0(VALU_DEP_1) | instskip(SKIP_2) | instid1(VALU_DEP_2)
	v_pk_fma_f32 v[14:15], v[4:5], v[12:13], v[10:11]
	s_wait_xcnt 0x1
	v_pk_fma_f32 v[4:5], v[4:5], v[12:13], v[10:11] neg_lo:[0,0,1] neg_hi:[0,0,1]
	v_mov_b32_e32 v5, v15
	s_wait_loadcnt_dscnt 0x0
	s_delay_alu instid0(VALU_DEP_1)
	v_pk_add_f32 v[4:5], v[4:5], v[8:9]
	flat_store_b64 v[6:7], v[4:5]
	s_branch .LBB107_2
.LBB107_5:
	s_endpgm
	.section	.rodata,"a",@progbits
	.p2align	6, 0x0
	.amdhsa_kernel _ZL19rocblas_axpy_kernelIlLi256E19rocblas_complex_numIfES1_PKPKS1_PKPS1_EviT2_lT3_lT_lT4_lSB_li
		.amdhsa_group_segment_fixed_size 0
		.amdhsa_private_segment_fixed_size 0
		.amdhsa_kernarg_size 92
		.amdhsa_user_sgpr_count 2
		.amdhsa_user_sgpr_dispatch_ptr 0
		.amdhsa_user_sgpr_queue_ptr 0
		.amdhsa_user_sgpr_kernarg_segment_ptr 1
		.amdhsa_user_sgpr_dispatch_id 0
		.amdhsa_user_sgpr_kernarg_preload_length 0
		.amdhsa_user_sgpr_kernarg_preload_offset 0
		.amdhsa_user_sgpr_private_segment_size 0
		.amdhsa_wavefront_size32 1
		.amdhsa_uses_dynamic_stack 0
		.amdhsa_enable_private_segment 0
		.amdhsa_system_sgpr_workgroup_id_x 1
		.amdhsa_system_sgpr_workgroup_id_y 0
		.amdhsa_system_sgpr_workgroup_id_z 1
		.amdhsa_system_sgpr_workgroup_info 0
		.amdhsa_system_vgpr_workitem_id 0
		.amdhsa_next_free_vgpr 16
		.amdhsa_next_free_sgpr 20
		.amdhsa_named_barrier_count 0
		.amdhsa_reserve_vcc 1
		.amdhsa_float_round_mode_32 0
		.amdhsa_float_round_mode_16_64 0
		.amdhsa_float_denorm_mode_32 3
		.amdhsa_float_denorm_mode_16_64 3
		.amdhsa_fp16_overflow 0
		.amdhsa_memory_ordered 1
		.amdhsa_forward_progress 1
		.amdhsa_inst_pref_size 4
		.amdhsa_round_robin_scheduling 0
		.amdhsa_exception_fp_ieee_invalid_op 0
		.amdhsa_exception_fp_denorm_src 0
		.amdhsa_exception_fp_ieee_div_zero 0
		.amdhsa_exception_fp_ieee_overflow 0
		.amdhsa_exception_fp_ieee_underflow 0
		.amdhsa_exception_fp_ieee_inexact 0
		.amdhsa_exception_int_div_zero 0
	.end_amdhsa_kernel
	.section	.text._ZL19rocblas_axpy_kernelIlLi256E19rocblas_complex_numIfES1_PKPKS1_PKPS1_EviT2_lT3_lT_lT4_lSB_li,"axG",@progbits,_ZL19rocblas_axpy_kernelIlLi256E19rocblas_complex_numIfES1_PKPKS1_PKPS1_EviT2_lT3_lT_lT4_lSB_li,comdat
.Lfunc_end107:
	.size	_ZL19rocblas_axpy_kernelIlLi256E19rocblas_complex_numIfES1_PKPKS1_PKPS1_EviT2_lT3_lT_lT4_lSB_li, .Lfunc_end107-_ZL19rocblas_axpy_kernelIlLi256E19rocblas_complex_numIfES1_PKPKS1_PKPS1_EviT2_lT3_lT_lT4_lSB_li
                                        ; -- End function
	.set _ZL19rocblas_axpy_kernelIlLi256E19rocblas_complex_numIfES1_PKPKS1_PKPS1_EviT2_lT3_lT_lT4_lSB_li.num_vgpr, 16
	.set _ZL19rocblas_axpy_kernelIlLi256E19rocblas_complex_numIfES1_PKPKS1_PKPS1_EviT2_lT3_lT_lT4_lSB_li.num_agpr, 0
	.set _ZL19rocblas_axpy_kernelIlLi256E19rocblas_complex_numIfES1_PKPKS1_PKPS1_EviT2_lT3_lT_lT4_lSB_li.numbered_sgpr, 20
	.set _ZL19rocblas_axpy_kernelIlLi256E19rocblas_complex_numIfES1_PKPKS1_PKPS1_EviT2_lT3_lT_lT4_lSB_li.num_named_barrier, 0
	.set _ZL19rocblas_axpy_kernelIlLi256E19rocblas_complex_numIfES1_PKPKS1_PKPS1_EviT2_lT3_lT_lT4_lSB_li.private_seg_size, 0
	.set _ZL19rocblas_axpy_kernelIlLi256E19rocblas_complex_numIfES1_PKPKS1_PKPS1_EviT2_lT3_lT_lT4_lSB_li.uses_vcc, 1
	.set _ZL19rocblas_axpy_kernelIlLi256E19rocblas_complex_numIfES1_PKPKS1_PKPS1_EviT2_lT3_lT_lT4_lSB_li.uses_flat_scratch, 0
	.set _ZL19rocblas_axpy_kernelIlLi256E19rocblas_complex_numIfES1_PKPKS1_PKPS1_EviT2_lT3_lT_lT4_lSB_li.has_dyn_sized_stack, 0
	.set _ZL19rocblas_axpy_kernelIlLi256E19rocblas_complex_numIfES1_PKPKS1_PKPS1_EviT2_lT3_lT_lT4_lSB_li.has_recursion, 0
	.set _ZL19rocblas_axpy_kernelIlLi256E19rocblas_complex_numIfES1_PKPKS1_PKPS1_EviT2_lT3_lT_lT4_lSB_li.has_indirect_call, 0
	.section	.AMDGPU.csdata,"",@progbits
; Kernel info:
; codeLenInByte = 432
; TotalNumSgprs: 22
; NumVgprs: 16
; ScratchSize: 0
; MemoryBound: 0
; FloatMode: 240
; IeeeMode: 1
; LDSByteSize: 0 bytes/workgroup (compile time only)
; SGPRBlocks: 0
; VGPRBlocks: 0
; NumSGPRsForWavesPerEU: 22
; NumVGPRsForWavesPerEU: 16
; NamedBarCnt: 0
; Occupancy: 16
; WaveLimiterHint : 1
; COMPUTE_PGM_RSRC2:SCRATCH_EN: 0
; COMPUTE_PGM_RSRC2:USER_SGPR: 2
; COMPUTE_PGM_RSRC2:TRAP_HANDLER: 0
; COMPUTE_PGM_RSRC2:TGID_X_EN: 1
; COMPUTE_PGM_RSRC2:TGID_Y_EN: 0
; COMPUTE_PGM_RSRC2:TGID_Z_EN: 1
; COMPUTE_PGM_RSRC2:TIDIG_COMP_CNT: 0
	.section	.text._ZL26rocblas_haxpy_mlt_8_kernelILi256EPKDF16_PKPK19rocblas_complex_numIdEPKPS3_EviT0_lT1_llT2_lli,"axG",@progbits,_ZL26rocblas_haxpy_mlt_8_kernelILi256EPKDF16_PKPK19rocblas_complex_numIdEPKPS3_EviT0_lT1_llT2_lli,comdat
	.globl	_ZL26rocblas_haxpy_mlt_8_kernelILi256EPKDF16_PKPK19rocblas_complex_numIdEPKPS3_EviT0_lT1_llT2_lli ; -- Begin function _ZL26rocblas_haxpy_mlt_8_kernelILi256EPKDF16_PKPK19rocblas_complex_numIdEPKPS3_EviT0_lT1_llT2_lli
	.p2align	8
	.type	_ZL26rocblas_haxpy_mlt_8_kernelILi256EPKDF16_PKPK19rocblas_complex_numIdEPKPS3_EviT0_lT1_llT2_lli,@function
_ZL26rocblas_haxpy_mlt_8_kernelILi256EPKDF16_PKPK19rocblas_complex_numIdEPKPS3_EviT0_lT1_llT2_lli: ; @_ZL26rocblas_haxpy_mlt_8_kernelILi256EPKDF16_PKPK19rocblas_complex_numIdEPKPS3_EviT0_lT1_llT2_lli
; %bb.0:
	s_load_b32 s14, s[0:1], 0x48
	s_bfe_u32 s2, ttmp6, 0x40014
	s_lshr_b32 s3, ttmp7, 16
	s_add_co_i32 s2, s2, 1
	s_bfe_u32 s5, ttmp6, 0x40008
	s_mul_i32 s4, s3, s2
	s_getreg_b32 s2, hwreg(HW_REG_IB_STS2, 6, 4)
	s_add_co_i32 s5, s5, s4
	s_cmp_eq_u32 s2, 0
	s_mov_b32 s13, 0
	s_cselect_b32 s12, s3, s5
	s_wait_kmcnt 0x0
	s_cmp_ge_u32 s12, s14
	s_cbranch_scc1 .LBB108_5
; %bb.1:
	s_load_b32 s16, s[0:1], 0x0
	s_bfe_u32 s3, ttmp6, 0x4000c
	s_and_b32 s15, ttmp6, 15
	s_add_co_i32 s3, s3, 1
	s_load_b256 s[4:11], s[0:1], 0x8
	s_mul_i32 s3, ttmp9, s3
	v_mov_b32_e32 v1, 0
	s_add_co_i32 s15, s15, s3
	s_wait_kmcnt 0x0
	s_ashr_i32 s17, s16, 31
	s_cmp_eq_u32 s2, 0
	s_load_b128 s[0:3], s[0:1], 0x30
	s_cselect_b32 s15, ttmp9, s15
	s_lshl_b64 s[10:11], s[10:11], 4
	v_lshl_or_b32 v0, s15, 8, v0
	s_delay_alu instid0(VALU_DEP_1) | instskip(NEXT) | instid1(VALU_DEP_1)
	v_lshlrev_b64_e32 v[2:3], 3, v[0:1]
	v_cmp_le_i64_e32 vcc_lo, s[16:17], v[2:3]
	v_lshlrev_b64_e32 v[2:3], 4, v[2:3]
	s_wait_kmcnt 0x0
	s_lshl_b64 s[2:3], s[2:3], 4
	s_xor_b32 s15, vcc_lo, -1
	s_branch .LBB108_3
.LBB108_2:                              ;   in Loop: Header=BB108_3 Depth=1
	s_wait_xcnt 0x0
	s_or_b32 exec_lo, exec_lo, s16
	s_add_co_i32 s12, s12, 0x10000
	s_delay_alu instid0(SALU_CYCLE_1)
	s_cmp_lt_u32 s12, s14
	s_cbranch_scc0 .LBB108_5
.LBB108_3:                              ; =>This Inner Loop Header: Depth=1
	s_mul_u64 s[16:17], s[6:7], s[12:13]
	s_delay_alu instid0(SALU_CYCLE_1) | instskip(NEXT) | instid1(SALU_CYCLE_1)
	s_lshl_b64 s[16:17], s[16:17], 1
	s_add_nc_u64 s[16:17], s[4:5], s[16:17]
	global_load_u16 v0, v1, s[16:17]
	s_wait_loadcnt 0x0
	s_wait_xcnt 0x0
	v_readfirstlane_b32 s16, v0
	s_pack_ll_b32_b16 s16, s16, s16
	s_delay_alu instid0(SALU_CYCLE_1) | instskip(NEXT) | instid1(SALU_CYCLE_1)
	s_and_b32 s16, s16, 0x7fff
	s_cmp_lg_u32 s16, 0
	s_cselect_b32 s16, -1, 0
	s_delay_alu instid0(SALU_CYCLE_1) | instskip(NEXT) | instid1(SALU_CYCLE_1)
	s_and_b32 s17, s16, s15
	s_and_saveexec_b32 s16, s17
	s_cbranch_execz .LBB108_2
; %bb.4:                                ;   in Loop: Header=BB108_3 Depth=1
	s_lshl_b64 s[18:19], s[12:13], 3
	s_delay_alu instid0(SALU_CYCLE_1)
	s_add_nc_u64 s[20:21], s[0:1], s[18:19]
	s_add_nc_u64 s[18:19], s[8:9], s[18:19]
	s_clause 0x1
	global_load_b64 v[4:5], v1, s[20:21]
	global_load_b64 v[6:7], v1, s[18:19]
	s_wait_loadcnt 0x1
	v_add_nc_u64_e32 v[4:5], s[2:3], v[4:5]
	s_wait_loadcnt 0x0
	v_add_nc_u64_e32 v[6:7], s[10:11], v[6:7]
	s_delay_alu instid0(VALU_DEP_2) | instskip(NEXT) | instid1(VALU_DEP_2)
	v_add_nc_u64_e32 v[12:13], v[4:5], v[2:3]
	v_add_nc_u64_e32 v[14:15], v[6:7], v[2:3]
	flat_load_b128 v[4:7], v[12:13]
	flat_load_b128 v[8:11], v[14:15]
	s_wait_loadcnt_dscnt 0x0
	v_pk_fma_f16 v7, v0, v11, v7 op_sel_hi:[0,1,1]
	v_pk_fma_f16 v6, v0, v10, v6 op_sel_hi:[0,1,1]
	;; [unrolled: 1-line block ×4, first 2 shown]
	flat_store_b128 v[12:13], v[4:7]
	s_branch .LBB108_2
.LBB108_5:
	s_endpgm
	.section	.rodata,"a",@progbits
	.p2align	6, 0x0
	.amdhsa_kernel _ZL26rocblas_haxpy_mlt_8_kernelILi256EPKDF16_PKPK19rocblas_complex_numIdEPKPS3_EviT0_lT1_llT2_lli
		.amdhsa_group_segment_fixed_size 0
		.amdhsa_private_segment_fixed_size 0
		.amdhsa_kernarg_size 76
		.amdhsa_user_sgpr_count 2
		.amdhsa_user_sgpr_dispatch_ptr 0
		.amdhsa_user_sgpr_queue_ptr 0
		.amdhsa_user_sgpr_kernarg_segment_ptr 1
		.amdhsa_user_sgpr_dispatch_id 0
		.amdhsa_user_sgpr_kernarg_preload_length 0
		.amdhsa_user_sgpr_kernarg_preload_offset 0
		.amdhsa_user_sgpr_private_segment_size 0
		.amdhsa_wavefront_size32 1
		.amdhsa_uses_dynamic_stack 0
		.amdhsa_enable_private_segment 0
		.amdhsa_system_sgpr_workgroup_id_x 1
		.amdhsa_system_sgpr_workgroup_id_y 0
		.amdhsa_system_sgpr_workgroup_id_z 1
		.amdhsa_system_sgpr_workgroup_info 0
		.amdhsa_system_vgpr_workitem_id 0
		.amdhsa_next_free_vgpr 16
		.amdhsa_next_free_sgpr 22
		.amdhsa_named_barrier_count 0
		.amdhsa_reserve_vcc 1
		.amdhsa_float_round_mode_32 0
		.amdhsa_float_round_mode_16_64 0
		.amdhsa_float_denorm_mode_32 3
		.amdhsa_float_denorm_mode_16_64 3
		.amdhsa_fp16_overflow 0
		.amdhsa_memory_ordered 1
		.amdhsa_forward_progress 1
		.amdhsa_inst_pref_size 4
		.amdhsa_round_robin_scheduling 0
		.amdhsa_exception_fp_ieee_invalid_op 0
		.amdhsa_exception_fp_denorm_src 0
		.amdhsa_exception_fp_ieee_div_zero 0
		.amdhsa_exception_fp_ieee_overflow 0
		.amdhsa_exception_fp_ieee_underflow 0
		.amdhsa_exception_fp_ieee_inexact 0
		.amdhsa_exception_int_div_zero 0
	.end_amdhsa_kernel
	.section	.text._ZL26rocblas_haxpy_mlt_8_kernelILi256EPKDF16_PKPK19rocblas_complex_numIdEPKPS3_EviT0_lT1_llT2_lli,"axG",@progbits,_ZL26rocblas_haxpy_mlt_8_kernelILi256EPKDF16_PKPK19rocblas_complex_numIdEPKPS3_EviT0_lT1_llT2_lli,comdat
.Lfunc_end108:
	.size	_ZL26rocblas_haxpy_mlt_8_kernelILi256EPKDF16_PKPK19rocblas_complex_numIdEPKPS3_EviT0_lT1_llT2_lli, .Lfunc_end108-_ZL26rocblas_haxpy_mlt_8_kernelILi256EPKDF16_PKPK19rocblas_complex_numIdEPKPS3_EviT0_lT1_llT2_lli
                                        ; -- End function
	.set _ZL26rocblas_haxpy_mlt_8_kernelILi256EPKDF16_PKPK19rocblas_complex_numIdEPKPS3_EviT0_lT1_llT2_lli.num_vgpr, 16
	.set _ZL26rocblas_haxpy_mlt_8_kernelILi256EPKDF16_PKPK19rocblas_complex_numIdEPKPS3_EviT0_lT1_llT2_lli.num_agpr, 0
	.set _ZL26rocblas_haxpy_mlt_8_kernelILi256EPKDF16_PKPK19rocblas_complex_numIdEPKPS3_EviT0_lT1_llT2_lli.numbered_sgpr, 22
	.set _ZL26rocblas_haxpy_mlt_8_kernelILi256EPKDF16_PKPK19rocblas_complex_numIdEPKPS3_EviT0_lT1_llT2_lli.num_named_barrier, 0
	.set _ZL26rocblas_haxpy_mlt_8_kernelILi256EPKDF16_PKPK19rocblas_complex_numIdEPKPS3_EviT0_lT1_llT2_lli.private_seg_size, 0
	.set _ZL26rocblas_haxpy_mlt_8_kernelILi256EPKDF16_PKPK19rocblas_complex_numIdEPKPS3_EviT0_lT1_llT2_lli.uses_vcc, 1
	.set _ZL26rocblas_haxpy_mlt_8_kernelILi256EPKDF16_PKPK19rocblas_complex_numIdEPKPS3_EviT0_lT1_llT2_lli.uses_flat_scratch, 0
	.set _ZL26rocblas_haxpy_mlt_8_kernelILi256EPKDF16_PKPK19rocblas_complex_numIdEPKPS3_EviT0_lT1_llT2_lli.has_dyn_sized_stack, 0
	.set _ZL26rocblas_haxpy_mlt_8_kernelILi256EPKDF16_PKPK19rocblas_complex_numIdEPKPS3_EviT0_lT1_llT2_lli.has_recursion, 0
	.set _ZL26rocblas_haxpy_mlt_8_kernelILi256EPKDF16_PKPK19rocblas_complex_numIdEPKPS3_EviT0_lT1_llT2_lli.has_indirect_call, 0
	.section	.AMDGPU.csdata,"",@progbits
; Kernel info:
; codeLenInByte = 440
; TotalNumSgprs: 24
; NumVgprs: 16
; ScratchSize: 0
; MemoryBound: 1
; FloatMode: 240
; IeeeMode: 1
; LDSByteSize: 0 bytes/workgroup (compile time only)
; SGPRBlocks: 0
; VGPRBlocks: 0
; NumSGPRsForWavesPerEU: 24
; NumVGPRsForWavesPerEU: 16
; NamedBarCnt: 0
; Occupancy: 16
; WaveLimiterHint : 1
; COMPUTE_PGM_RSRC2:SCRATCH_EN: 0
; COMPUTE_PGM_RSRC2:USER_SGPR: 2
; COMPUTE_PGM_RSRC2:TRAP_HANDLER: 0
; COMPUTE_PGM_RSRC2:TGID_X_EN: 1
; COMPUTE_PGM_RSRC2:TGID_Y_EN: 0
; COMPUTE_PGM_RSRC2:TGID_Z_EN: 1
; COMPUTE_PGM_RSRC2:TIDIG_COMP_CNT: 0
	.section	.text._ZL26rocblas_haxpy_mod_8_kernelILi256EPK19rocblas_complex_numIdEPKS3_PKPS1_EviT0_lT1_llT2_lli,"axG",@progbits,_ZL26rocblas_haxpy_mod_8_kernelILi256EPK19rocblas_complex_numIdEPKS3_PKPS1_EviT0_lT1_llT2_lli,comdat
	.globl	_ZL26rocblas_haxpy_mod_8_kernelILi256EPK19rocblas_complex_numIdEPKS3_PKPS1_EviT0_lT1_llT2_lli ; -- Begin function _ZL26rocblas_haxpy_mod_8_kernelILi256EPK19rocblas_complex_numIdEPKS3_PKPS1_EviT0_lT1_llT2_lli
	.p2align	8
	.type	_ZL26rocblas_haxpy_mod_8_kernelILi256EPK19rocblas_complex_numIdEPKS3_PKPS1_EviT0_lT1_llT2_lli,@function
_ZL26rocblas_haxpy_mod_8_kernelILi256EPK19rocblas_complex_numIdEPKS3_PKPS1_EviT0_lT1_llT2_lli: ; @_ZL26rocblas_haxpy_mod_8_kernelILi256EPK19rocblas_complex_numIdEPKS3_PKPS1_EviT0_lT1_llT2_lli
; %bb.0:
	s_load_b32 s16, s[0:1], 0x48
	s_bfe_u32 s2, ttmp6, 0x40014
	s_lshr_b32 s3, ttmp7, 16
	s_add_co_i32 s2, s2, 1
	s_bfe_u32 s4, ttmp6, 0x40008
	s_mul_i32 s2, s3, s2
	s_getreg_b32 s17, hwreg(HW_REG_IB_STS2, 6, 4)
	s_add_co_i32 s4, s4, s2
	s_cmp_eq_u32 s17, 0
	s_cselect_b32 s2, s3, s4
	s_mov_b32 s3, 0
	s_wait_kmcnt 0x0
	s_cmp_ge_u32 s2, s16
	s_cbranch_scc1 .LBB109_5
; %bb.1:
	s_clause 0x1
	s_load_b32 s18, s[0:1], 0x0
	s_load_b256 s[4:11], s[0:1], 0x8
	s_bfe_u32 s19, ttmp6, 0x4000c
	s_load_b128 s[12:15], s[0:1], 0x30
	s_add_co_i32 s19, s19, 1
	s_wait_xcnt 0x0
	s_and_b32 s0, ttmp6, 15
	s_mul_i32 s1, ttmp9, s19
	v_mov_b32_e32 v5, 0
	s_add_co_i32 s0, s0, s1
	s_wait_kmcnt 0x0
	s_ashr_i32 s19, s18, 31
	s_cmp_eq_u32 s17, 0
	s_cselect_b32 s0, ttmp9, s0
	s_lshl_b64 s[10:11], s[10:11], 4
	v_lshl_or_b32 v4, s0, 8, v0
	s_lshl_b64 s[14:15], s[14:15], 4
	s_delay_alu instid0(VALU_DEP_1)
	v_lshlrev_b64_e32 v[6:7], 4, v[4:5]
	v_cmp_gt_i64_e32 vcc_lo, s[18:19], v[4:5]
	s_branch .LBB109_3
.LBB109_2:                              ;   in Loop: Header=BB109_3 Depth=1
	s_wait_xcnt 0x0
	s_or_b32 exec_lo, exec_lo, s0
	s_add_co_i32 s2, s2, 0x10000
	s_delay_alu instid0(SALU_CYCLE_1)
	s_cmp_lt_u32 s2, s16
	s_cbranch_scc0 .LBB109_5
.LBB109_3:                              ; =>This Inner Loop Header: Depth=1
	s_mul_u64 s[0:1], s[6:7], s[2:3]
	s_delay_alu instid0(SALU_CYCLE_1) | instskip(NEXT) | instid1(SALU_CYCLE_1)
	s_lshl_b64 s[0:1], s[0:1], 4
	s_add_nc_u64 s[0:1], s[4:5], s[0:1]
	global_load_b128 v[0:3], v5, s[0:1]
	s_wait_loadcnt 0x0
	s_wait_xcnt 0x0
	v_cmp_neq_f64_e64 s0, 0, v[0:1]
	v_cmp_neq_f64_e64 s1, 0, v[2:3]
	s_or_b32 s0, s0, s1
	s_delay_alu instid0(SALU_CYCLE_1) | instskip(NEXT) | instid1(SALU_CYCLE_1)
	s_and_b32 s1, vcc_lo, s0
	s_and_saveexec_b32 s0, s1
	s_cbranch_execz .LBB109_2
; %bb.4:                                ;   in Loop: Header=BB109_3 Depth=1
	s_lshl_b64 s[18:19], s[2:3], 3
	s_delay_alu instid0(SALU_CYCLE_1)
	s_add_nc_u64 s[20:21], s[8:9], s[18:19]
	s_add_nc_u64 s[18:19], s[12:13], s[18:19]
	s_load_b64 s[20:21], s[20:21], 0x0
	s_wait_kmcnt 0x0
	s_wait_xcnt 0x0
	s_add_nc_u64 s[20:21], s[20:21], s[10:11]
	s_load_b64 s[18:19], s[18:19], 0x0
	v_add_nc_u64_e32 v[8:9], s[20:21], v[6:7]
	flat_load_b128 v[8:11], v[8:9]
	s_wait_kmcnt 0x0
	s_add_nc_u64 s[18:19], s[18:19], s[14:15]
	s_delay_alu instid0(SALU_CYCLE_1) | instskip(SKIP_4) | instid1(VALU_DEP_2)
	v_add_nc_u64_e32 v[16:17], s[18:19], v[6:7]
	flat_load_b128 v[12:15], v[16:17]
	s_wait_loadcnt_dscnt 0x101
	v_mul_f64_e32 v[18:19], v[2:3], v[10:11]
	v_mul_f64_e32 v[10:11], v[0:1], v[10:11]
	v_fma_f64 v[0:1], v[0:1], v[8:9], -v[18:19]
	s_delay_alu instid0(VALU_DEP_2) | instskip(SKIP_1) | instid1(VALU_DEP_2)
	v_fmac_f64_e32 v[10:11], v[2:3], v[8:9]
	s_wait_loadcnt_dscnt 0x0
	v_add_f64_e32 v[0:1], v[12:13], v[0:1]
	s_delay_alu instid0(VALU_DEP_2)
	v_add_f64_e32 v[2:3], v[10:11], v[14:15]
	flat_store_b128 v[16:17], v[0:3]
	s_branch .LBB109_2
.LBB109_5:
	s_endpgm
	.section	.rodata,"a",@progbits
	.p2align	6, 0x0
	.amdhsa_kernel _ZL26rocblas_haxpy_mod_8_kernelILi256EPK19rocblas_complex_numIdEPKS3_PKPS1_EviT0_lT1_llT2_lli
		.amdhsa_group_segment_fixed_size 0
		.amdhsa_private_segment_fixed_size 0
		.amdhsa_kernarg_size 76
		.amdhsa_user_sgpr_count 2
		.amdhsa_user_sgpr_dispatch_ptr 0
		.amdhsa_user_sgpr_queue_ptr 0
		.amdhsa_user_sgpr_kernarg_segment_ptr 1
		.amdhsa_user_sgpr_dispatch_id 0
		.amdhsa_user_sgpr_kernarg_preload_length 0
		.amdhsa_user_sgpr_kernarg_preload_offset 0
		.amdhsa_user_sgpr_private_segment_size 0
		.amdhsa_wavefront_size32 1
		.amdhsa_uses_dynamic_stack 0
		.amdhsa_enable_private_segment 0
		.amdhsa_system_sgpr_workgroup_id_x 1
		.amdhsa_system_sgpr_workgroup_id_y 0
		.amdhsa_system_sgpr_workgroup_id_z 1
		.amdhsa_system_sgpr_workgroup_info 0
		.amdhsa_system_vgpr_workitem_id 0
		.amdhsa_next_free_vgpr 20
		.amdhsa_next_free_sgpr 22
		.amdhsa_named_barrier_count 0
		.amdhsa_reserve_vcc 1
		.amdhsa_float_round_mode_32 0
		.amdhsa_float_round_mode_16_64 0
		.amdhsa_float_denorm_mode_32 3
		.amdhsa_float_denorm_mode_16_64 3
		.amdhsa_fp16_overflow 0
		.amdhsa_memory_ordered 1
		.amdhsa_forward_progress 1
		.amdhsa_inst_pref_size 4
		.amdhsa_round_robin_scheduling 0
		.amdhsa_exception_fp_ieee_invalid_op 0
		.amdhsa_exception_fp_denorm_src 0
		.amdhsa_exception_fp_ieee_div_zero 0
		.amdhsa_exception_fp_ieee_overflow 0
		.amdhsa_exception_fp_ieee_underflow 0
		.amdhsa_exception_fp_ieee_inexact 0
		.amdhsa_exception_int_div_zero 0
	.end_amdhsa_kernel
	.section	.text._ZL26rocblas_haxpy_mod_8_kernelILi256EPK19rocblas_complex_numIdEPKS3_PKPS1_EviT0_lT1_llT2_lli,"axG",@progbits,_ZL26rocblas_haxpy_mod_8_kernelILi256EPK19rocblas_complex_numIdEPKS3_PKPS1_EviT0_lT1_llT2_lli,comdat
.Lfunc_end109:
	.size	_ZL26rocblas_haxpy_mod_8_kernelILi256EPK19rocblas_complex_numIdEPKS3_PKPS1_EviT0_lT1_llT2_lli, .Lfunc_end109-_ZL26rocblas_haxpy_mod_8_kernelILi256EPK19rocblas_complex_numIdEPKS3_PKPS1_EviT0_lT1_llT2_lli
                                        ; -- End function
	.set _ZL26rocblas_haxpy_mod_8_kernelILi256EPK19rocblas_complex_numIdEPKS3_PKPS1_EviT0_lT1_llT2_lli.num_vgpr, 20
	.set _ZL26rocblas_haxpy_mod_8_kernelILi256EPK19rocblas_complex_numIdEPKS3_PKPS1_EviT0_lT1_llT2_lli.num_agpr, 0
	.set _ZL26rocblas_haxpy_mod_8_kernelILi256EPK19rocblas_complex_numIdEPKS3_PKPS1_EviT0_lT1_llT2_lli.numbered_sgpr, 22
	.set _ZL26rocblas_haxpy_mod_8_kernelILi256EPK19rocblas_complex_numIdEPKS3_PKPS1_EviT0_lT1_llT2_lli.num_named_barrier, 0
	.set _ZL26rocblas_haxpy_mod_8_kernelILi256EPK19rocblas_complex_numIdEPKS3_PKPS1_EviT0_lT1_llT2_lli.private_seg_size, 0
	.set _ZL26rocblas_haxpy_mod_8_kernelILi256EPK19rocblas_complex_numIdEPKS3_PKPS1_EviT0_lT1_llT2_lli.uses_vcc, 1
	.set _ZL26rocblas_haxpy_mod_8_kernelILi256EPK19rocblas_complex_numIdEPKS3_PKPS1_EviT0_lT1_llT2_lli.uses_flat_scratch, 0
	.set _ZL26rocblas_haxpy_mod_8_kernelILi256EPK19rocblas_complex_numIdEPKS3_PKPS1_EviT0_lT1_llT2_lli.has_dyn_sized_stack, 0
	.set _ZL26rocblas_haxpy_mod_8_kernelILi256EPK19rocblas_complex_numIdEPKS3_PKPS1_EviT0_lT1_llT2_lli.has_recursion, 0
	.set _ZL26rocblas_haxpy_mod_8_kernelILi256EPK19rocblas_complex_numIdEPKS3_PKPS1_EviT0_lT1_llT2_lli.has_indirect_call, 0
	.section	.AMDGPU.csdata,"",@progbits
; Kernel info:
; codeLenInByte = 428
; TotalNumSgprs: 24
; NumVgprs: 20
; ScratchSize: 0
; MemoryBound: 0
; FloatMode: 240
; IeeeMode: 1
; LDSByteSize: 0 bytes/workgroup (compile time only)
; SGPRBlocks: 0
; VGPRBlocks: 1
; NumSGPRsForWavesPerEU: 24
; NumVGPRsForWavesPerEU: 20
; NamedBarCnt: 0
; Occupancy: 16
; WaveLimiterHint : 1
; COMPUTE_PGM_RSRC2:SCRATCH_EN: 0
; COMPUTE_PGM_RSRC2:USER_SGPR: 2
; COMPUTE_PGM_RSRC2:TRAP_HANDLER: 0
; COMPUTE_PGM_RSRC2:TGID_X_EN: 1
; COMPUTE_PGM_RSRC2:TGID_Y_EN: 0
; COMPUTE_PGM_RSRC2:TGID_Z_EN: 1
; COMPUTE_PGM_RSRC2:TIDIG_COMP_CNT: 0
	.section	.text._ZL26rocblas_haxpy_mlt_8_kernelILi256EDF16_PKPK19rocblas_complex_numIdEPKPS1_EviT0_lT1_llT2_lli,"axG",@progbits,_ZL26rocblas_haxpy_mlt_8_kernelILi256EDF16_PKPK19rocblas_complex_numIdEPKPS1_EviT0_lT1_llT2_lli,comdat
	.globl	_ZL26rocblas_haxpy_mlt_8_kernelILi256EDF16_PKPK19rocblas_complex_numIdEPKPS1_EviT0_lT1_llT2_lli ; -- Begin function _ZL26rocblas_haxpy_mlt_8_kernelILi256EDF16_PKPK19rocblas_complex_numIdEPKPS1_EviT0_lT1_llT2_lli
	.p2align	8
	.type	_ZL26rocblas_haxpy_mlt_8_kernelILi256EDF16_PKPK19rocblas_complex_numIdEPKPS1_EviT0_lT1_llT2_lli,@function
_ZL26rocblas_haxpy_mlt_8_kernelILi256EDF16_PKPK19rocblas_complex_numIdEPKPS1_EviT0_lT1_llT2_lli: ; @_ZL26rocblas_haxpy_mlt_8_kernelILi256EDF16_PKPK19rocblas_complex_numIdEPKPS1_EviT0_lT1_llT2_lli
; %bb.0:
	s_load_b32 s12, s[0:1], 0x40
	s_bfe_u32 s2, ttmp6, 0x40014
	s_lshr_b32 s3, ttmp7, 16
	s_add_co_i32 s2, s2, 1
	s_bfe_u32 s5, ttmp6, 0x40008
	s_mul_i32 s4, s3, s2
	s_getreg_b32 s2, hwreg(HW_REG_IB_STS2, 6, 4)
	s_add_co_i32 s5, s5, s4
	s_cmp_eq_u32 s2, 0
	s_cselect_b32 s13, s3, s5
	s_wait_kmcnt 0x0
	s_cmp_ge_u32 s13, s12
	s_cbranch_scc1 .LBB110_5
; %bb.1:
	s_load_b64 s[16:17], s[0:1], 0x0
	s_bfe_u32 s3, ttmp6, 0x4000c
	s_and_b32 s4, ttmp6, 15
	s_add_co_i32 s3, s3, 1
	s_load_b128 s[8:11], s[0:1], 0x28
	s_mul_i32 s3, ttmp9, s3
	v_mov_b32_e32 v1, 0
	s_add_co_i32 s3, s4, s3
	s_cmp_eq_u32 s2, 0
	s_load_b128 s[4:7], s[0:1], 0x10
	s_cselect_b32 s2, ttmp9, s3
	s_delay_alu instid0(SALU_CYCLE_1) | instskip(NEXT) | instid1(VALU_DEP_1)
	v_lshl_or_b32 v0, s2, 8, v0
	v_lshlrev_b64_e32 v[0:1], 3, v[0:1]
	s_wait_kmcnt 0x0
	s_pack_ll_b32_b16 s14, s17, s17
	s_delay_alu instid0(SALU_CYCLE_1) | instskip(SKIP_4) | instid1(SALU_CYCLE_1)
	s_and_b32 s0, s14, 0x7fff
	s_mov_b32 s15, s14
	s_cmp_lg_u32 s0, 0
	s_cselect_b32 s2, -1, 0
	s_ashr_i32 s17, s16, 31
	v_cmp_gt_i64_e32 vcc_lo, s[16:17], v[0:1]
	v_lshlrev_b64_e32 v[0:1], 4, v[0:1]
	s_mov_b32 s16, s14
	s_mov_b32 s17, s14
	s_lshl_b64 s[0:1], s[6:7], 4
	s_and_b32 s6, s2, vcc_lo
	s_lshl_b64 s[2:3], s[10:11], 4
	s_branch .LBB110_3
.LBB110_2:                              ;   in Loop: Header=BB110_3 Depth=1
	s_wait_xcnt 0x0
	s_or_b32 exec_lo, exec_lo, s7
	s_add_co_i32 s13, s13, 0x10000
	s_delay_alu instid0(SALU_CYCLE_1)
	s_cmp_lt_u32 s13, s12
	s_cbranch_scc0 .LBB110_5
.LBB110_3:                              ; =>This Inner Loop Header: Depth=1
	s_and_saveexec_b32 s7, s6
	s_cbranch_execz .LBB110_2
; %bb.4:                                ;   in Loop: Header=BB110_3 Depth=1
	v_mov_b32_e32 v6, s13
	s_clause 0x1
	global_load_b64 v[2:3], v6, s[8:9] scale_offset
	global_load_b64 v[4:5], v6, s[4:5] scale_offset
	s_wait_loadcnt 0x1
	v_add_nc_u64_e32 v[2:3], s[2:3], v[2:3]
	s_wait_loadcnt 0x0
	v_add_nc_u64_e32 v[4:5], s[0:1], v[4:5]
	s_delay_alu instid0(VALU_DEP_2) | instskip(NEXT) | instid1(VALU_DEP_2)
	v_add_nc_u64_e32 v[10:11], v[2:3], v[0:1]
	v_add_nc_u64_e32 v[12:13], v[4:5], v[0:1]
	flat_load_b128 v[2:5], v[10:11]
	flat_load_b128 v[6:9], v[12:13]
	s_wait_loadcnt_dscnt 0x0
	v_pk_fma_f16 v5, s17, v9, v5
	v_pk_fma_f16 v4, s16, v8, v4
	;; [unrolled: 1-line block ×4, first 2 shown]
	flat_store_b128 v[10:11], v[2:5]
	s_branch .LBB110_2
.LBB110_5:
	s_endpgm
	.section	.rodata,"a",@progbits
	.p2align	6, 0x0
	.amdhsa_kernel _ZL26rocblas_haxpy_mlt_8_kernelILi256EDF16_PKPK19rocblas_complex_numIdEPKPS1_EviT0_lT1_llT2_lli
		.amdhsa_group_segment_fixed_size 0
		.amdhsa_private_segment_fixed_size 0
		.amdhsa_kernarg_size 68
		.amdhsa_user_sgpr_count 2
		.amdhsa_user_sgpr_dispatch_ptr 0
		.amdhsa_user_sgpr_queue_ptr 0
		.amdhsa_user_sgpr_kernarg_segment_ptr 1
		.amdhsa_user_sgpr_dispatch_id 0
		.amdhsa_user_sgpr_kernarg_preload_length 0
		.amdhsa_user_sgpr_kernarg_preload_offset 0
		.amdhsa_user_sgpr_private_segment_size 0
		.amdhsa_wavefront_size32 1
		.amdhsa_uses_dynamic_stack 0
		.amdhsa_enable_private_segment 0
		.amdhsa_system_sgpr_workgroup_id_x 1
		.amdhsa_system_sgpr_workgroup_id_y 0
		.amdhsa_system_sgpr_workgroup_id_z 1
		.amdhsa_system_sgpr_workgroup_info 0
		.amdhsa_system_vgpr_workitem_id 0
		.amdhsa_next_free_vgpr 14
		.amdhsa_next_free_sgpr 18
		.amdhsa_named_barrier_count 0
		.amdhsa_reserve_vcc 1
		.amdhsa_float_round_mode_32 0
		.amdhsa_float_round_mode_16_64 0
		.amdhsa_float_denorm_mode_32 3
		.amdhsa_float_denorm_mode_16_64 3
		.amdhsa_fp16_overflow 0
		.amdhsa_memory_ordered 1
		.amdhsa_forward_progress 1
		.amdhsa_inst_pref_size 3
		.amdhsa_round_robin_scheduling 0
		.amdhsa_exception_fp_ieee_invalid_op 0
		.amdhsa_exception_fp_denorm_src 0
		.amdhsa_exception_fp_ieee_div_zero 0
		.amdhsa_exception_fp_ieee_overflow 0
		.amdhsa_exception_fp_ieee_underflow 0
		.amdhsa_exception_fp_ieee_inexact 0
		.amdhsa_exception_int_div_zero 0
	.end_amdhsa_kernel
	.section	.text._ZL26rocblas_haxpy_mlt_8_kernelILi256EDF16_PKPK19rocblas_complex_numIdEPKPS1_EviT0_lT1_llT2_lli,"axG",@progbits,_ZL26rocblas_haxpy_mlt_8_kernelILi256EDF16_PKPK19rocblas_complex_numIdEPKPS1_EviT0_lT1_llT2_lli,comdat
.Lfunc_end110:
	.size	_ZL26rocblas_haxpy_mlt_8_kernelILi256EDF16_PKPK19rocblas_complex_numIdEPKPS1_EviT0_lT1_llT2_lli, .Lfunc_end110-_ZL26rocblas_haxpy_mlt_8_kernelILi256EDF16_PKPK19rocblas_complex_numIdEPKPS1_EviT0_lT1_llT2_lli
                                        ; -- End function
	.set _ZL26rocblas_haxpy_mlt_8_kernelILi256EDF16_PKPK19rocblas_complex_numIdEPKPS1_EviT0_lT1_llT2_lli.num_vgpr, 14
	.set _ZL26rocblas_haxpy_mlt_8_kernelILi256EDF16_PKPK19rocblas_complex_numIdEPKPS1_EviT0_lT1_llT2_lli.num_agpr, 0
	.set _ZL26rocblas_haxpy_mlt_8_kernelILi256EDF16_PKPK19rocblas_complex_numIdEPKPS1_EviT0_lT1_llT2_lli.numbered_sgpr, 18
	.set _ZL26rocblas_haxpy_mlt_8_kernelILi256EDF16_PKPK19rocblas_complex_numIdEPKPS1_EviT0_lT1_llT2_lli.num_named_barrier, 0
	.set _ZL26rocblas_haxpy_mlt_8_kernelILi256EDF16_PKPK19rocblas_complex_numIdEPKPS1_EviT0_lT1_llT2_lli.private_seg_size, 0
	.set _ZL26rocblas_haxpy_mlt_8_kernelILi256EDF16_PKPK19rocblas_complex_numIdEPKPS1_EviT0_lT1_llT2_lli.uses_vcc, 1
	.set _ZL26rocblas_haxpy_mlt_8_kernelILi256EDF16_PKPK19rocblas_complex_numIdEPKPS1_EviT0_lT1_llT2_lli.uses_flat_scratch, 0
	.set _ZL26rocblas_haxpy_mlt_8_kernelILi256EDF16_PKPK19rocblas_complex_numIdEPKPS1_EviT0_lT1_llT2_lli.has_dyn_sized_stack, 0
	.set _ZL26rocblas_haxpy_mlt_8_kernelILi256EDF16_PKPK19rocblas_complex_numIdEPKPS1_EviT0_lT1_llT2_lli.has_recursion, 0
	.set _ZL26rocblas_haxpy_mlt_8_kernelILi256EDF16_PKPK19rocblas_complex_numIdEPKPS1_EviT0_lT1_llT2_lli.has_indirect_call, 0
	.section	.AMDGPU.csdata,"",@progbits
; Kernel info:
; codeLenInByte = 384
; TotalNumSgprs: 20
; NumVgprs: 14
; ScratchSize: 0
; MemoryBound: 1
; FloatMode: 240
; IeeeMode: 1
; LDSByteSize: 0 bytes/workgroup (compile time only)
; SGPRBlocks: 0
; VGPRBlocks: 0
; NumSGPRsForWavesPerEU: 20
; NumVGPRsForWavesPerEU: 14
; NamedBarCnt: 0
; Occupancy: 16
; WaveLimiterHint : 1
; COMPUTE_PGM_RSRC2:SCRATCH_EN: 0
; COMPUTE_PGM_RSRC2:USER_SGPR: 2
; COMPUTE_PGM_RSRC2:TRAP_HANDLER: 0
; COMPUTE_PGM_RSRC2:TGID_X_EN: 1
; COMPUTE_PGM_RSRC2:TGID_Y_EN: 0
; COMPUTE_PGM_RSRC2:TGID_Z_EN: 1
; COMPUTE_PGM_RSRC2:TIDIG_COMP_CNT: 0
	.section	.text._ZL26rocblas_haxpy_mod_8_kernelILi256E19rocblas_complex_numIdEPKPKS1_PKPS1_EviT0_lT1_llT2_lli,"axG",@progbits,_ZL26rocblas_haxpy_mod_8_kernelILi256E19rocblas_complex_numIdEPKPKS1_PKPS1_EviT0_lT1_llT2_lli,comdat
	.globl	_ZL26rocblas_haxpy_mod_8_kernelILi256E19rocblas_complex_numIdEPKPKS1_PKPS1_EviT0_lT1_llT2_lli ; -- Begin function _ZL26rocblas_haxpy_mod_8_kernelILi256E19rocblas_complex_numIdEPKPKS1_PKPS1_EviT0_lT1_llT2_lli
	.p2align	8
	.type	_ZL26rocblas_haxpy_mod_8_kernelILi256E19rocblas_complex_numIdEPKPKS1_PKPS1_EviT0_lT1_llT2_lli,@function
_ZL26rocblas_haxpy_mod_8_kernelILi256E19rocblas_complex_numIdEPKPKS1_PKPS1_EviT0_lT1_llT2_lli: ; @_ZL26rocblas_haxpy_mod_8_kernelILi256E19rocblas_complex_numIdEPKPKS1_PKPS1_EviT0_lT1_llT2_lli
; %bb.0:
	s_load_b32 s16, s[0:1], 0x50
	s_bfe_u32 s2, ttmp6, 0x40014
	s_lshr_b32 s3, ttmp7, 16
	s_add_co_i32 s2, s2, 1
	s_bfe_u32 s5, ttmp6, 0x40008
	s_mul_i32 s4, s3, s2
	s_getreg_b32 s2, hwreg(HW_REG_IB_STS2, 6, 4)
	s_add_co_i32 s5, s5, s4
	s_cmp_eq_u32 s2, 0
	s_cselect_b32 s17, s3, s5
	s_wait_kmcnt 0x0
	s_cmp_ge_u32 s17, s16
	s_cbranch_scc1 .LBB111_5
; %bb.1:
	s_clause 0x1
	s_load_b128 s[4:7], s[0:1], 0x8
	s_load_b32 s18, s[0:1], 0x0
	s_bfe_u32 s12, ttmp6, 0x4000c
	s_load_b128 s[8:11], s[0:1], 0x20
	s_add_co_i32 s12, s12, 1
	s_and_b32 s19, ttmp6, 15
	s_mul_i32 s21, ttmp9, s12
	s_load_b128 s[12:15], s[0:1], 0x38
	s_wait_xcnt 0x0
	s_add_co_i32 s0, s19, s21
	v_mov_b32_e32 v1, 0
	s_wait_kmcnt 0x0
	v_cmp_neq_f64_e64 s3, s[4:5], 0
	v_cmp_neq_f64_e64 s20, s[6:7], 0
	s_ashr_i32 s19, s18, 31
	s_cmp_eq_u32 s2, 0
	s_cselect_b32 s0, ttmp9, s0
	s_delay_alu instid0(SALU_CYCLE_1) | instskip(SKIP_1) | instid1(VALU_DEP_1)
	v_lshl_or_b32 v0, s0, 8, v0
	s_lshl_b64 s[0:1], s[10:11], 4
	v_cmp_gt_i64_e32 vcc_lo, s[18:19], v[0:1]
	v_lshlrev_b64_e32 v[0:1], 4, v[0:1]
	s_or_b32 s2, s3, s20
	s_delay_alu instid0(SALU_CYCLE_1)
	s_and_b32 s10, vcc_lo, s2
	s_lshl_b64 s[2:3], s[14:15], 4
	s_branch .LBB111_3
.LBB111_2:                              ;   in Loop: Header=BB111_3 Depth=1
	s_wait_xcnt 0x0
	s_or_b32 exec_lo, exec_lo, s11
	s_add_co_i32 s17, s17, 0x10000
	s_delay_alu instid0(SALU_CYCLE_1)
	s_cmp_lt_u32 s17, s16
	s_cbranch_scc0 .LBB111_5
.LBB111_3:                              ; =>This Inner Loop Header: Depth=1
	s_and_saveexec_b32 s11, s10
	s_cbranch_execz .LBB111_2
; %bb.4:                                ;   in Loop: Header=BB111_3 Depth=1
	s_load_b64 s[14:15], s[8:9], s17 offset:0x0 scale_offset
	s_wait_kmcnt 0x0
	s_add_nc_u64 s[14:15], s[14:15], s[0:1]
	s_delay_alu instid0(SALU_CYCLE_1) | instskip(SKIP_4) | instid1(SALU_CYCLE_1)
	v_add_nc_u64_e32 v[2:3], s[14:15], v[0:1]
	s_load_b64 s[14:15], s[12:13], s17 offset:0x0 scale_offset
	flat_load_b128 v[2:5], v[2:3]
	s_wait_kmcnt 0x0
	s_add_nc_u64 s[14:15], s[14:15], s[2:3]
	v_add_nc_u64_e32 v[10:11], s[14:15], v[0:1]
	flat_load_b128 v[6:9], v[10:11]
	s_wait_loadcnt_dscnt 0x101
	v_mul_f64_e32 v[12:13], s[6:7], v[4:5]
	v_mul_f64_e32 v[4:5], s[4:5], v[4:5]
	s_delay_alu instid0(VALU_DEP_2) | instskip(NEXT) | instid1(VALU_DEP_2)
	v_fma_f64 v[12:13], s[4:5], v[2:3], -v[12:13]
	v_fmac_f64_e32 v[4:5], s[6:7], v[2:3]
	s_wait_loadcnt_dscnt 0x0
	s_wait_xcnt 0x1
	s_delay_alu instid0(VALU_DEP_2) | instskip(NEXT) | instid1(VALU_DEP_2)
	v_add_f64_e32 v[2:3], v[6:7], v[12:13]
	v_add_f64_e32 v[4:5], v[4:5], v[8:9]
	flat_store_b128 v[10:11], v[2:5]
	s_branch .LBB111_2
.LBB111_5:
	s_endpgm
	.section	.rodata,"a",@progbits
	.p2align	6, 0x0
	.amdhsa_kernel _ZL26rocblas_haxpy_mod_8_kernelILi256E19rocblas_complex_numIdEPKPKS1_PKPS1_EviT0_lT1_llT2_lli
		.amdhsa_group_segment_fixed_size 0
		.amdhsa_private_segment_fixed_size 0
		.amdhsa_kernarg_size 84
		.amdhsa_user_sgpr_count 2
		.amdhsa_user_sgpr_dispatch_ptr 0
		.amdhsa_user_sgpr_queue_ptr 0
		.amdhsa_user_sgpr_kernarg_segment_ptr 1
		.amdhsa_user_sgpr_dispatch_id 0
		.amdhsa_user_sgpr_kernarg_preload_length 0
		.amdhsa_user_sgpr_kernarg_preload_offset 0
		.amdhsa_user_sgpr_private_segment_size 0
		.amdhsa_wavefront_size32 1
		.amdhsa_uses_dynamic_stack 0
		.amdhsa_enable_private_segment 0
		.amdhsa_system_sgpr_workgroup_id_x 1
		.amdhsa_system_sgpr_workgroup_id_y 0
		.amdhsa_system_sgpr_workgroup_id_z 1
		.amdhsa_system_sgpr_workgroup_info 0
		.amdhsa_system_vgpr_workitem_id 0
		.amdhsa_next_free_vgpr 14
		.amdhsa_next_free_sgpr 22
		.amdhsa_named_barrier_count 0
		.amdhsa_reserve_vcc 1
		.amdhsa_float_round_mode_32 0
		.amdhsa_float_round_mode_16_64 0
		.amdhsa_float_denorm_mode_32 3
		.amdhsa_float_denorm_mode_16_64 3
		.amdhsa_fp16_overflow 0
		.amdhsa_memory_ordered 1
		.amdhsa_forward_progress 1
		.amdhsa_inst_pref_size 3
		.amdhsa_round_robin_scheduling 0
		.amdhsa_exception_fp_ieee_invalid_op 0
		.amdhsa_exception_fp_denorm_src 0
		.amdhsa_exception_fp_ieee_div_zero 0
		.amdhsa_exception_fp_ieee_overflow 0
		.amdhsa_exception_fp_ieee_underflow 0
		.amdhsa_exception_fp_ieee_inexact 0
		.amdhsa_exception_int_div_zero 0
	.end_amdhsa_kernel
	.section	.text._ZL26rocblas_haxpy_mod_8_kernelILi256E19rocblas_complex_numIdEPKPKS1_PKPS1_EviT0_lT1_llT2_lli,"axG",@progbits,_ZL26rocblas_haxpy_mod_8_kernelILi256E19rocblas_complex_numIdEPKPKS1_PKPS1_EviT0_lT1_llT2_lli,comdat
.Lfunc_end111:
	.size	_ZL26rocblas_haxpy_mod_8_kernelILi256E19rocblas_complex_numIdEPKPKS1_PKPS1_EviT0_lT1_llT2_lli, .Lfunc_end111-_ZL26rocblas_haxpy_mod_8_kernelILi256E19rocblas_complex_numIdEPKPKS1_PKPS1_EviT0_lT1_llT2_lli
                                        ; -- End function
	.set _ZL26rocblas_haxpy_mod_8_kernelILi256E19rocblas_complex_numIdEPKPKS1_PKPS1_EviT0_lT1_llT2_lli.num_vgpr, 14
	.set _ZL26rocblas_haxpy_mod_8_kernelILi256E19rocblas_complex_numIdEPKPKS1_PKPS1_EviT0_lT1_llT2_lli.num_agpr, 0
	.set _ZL26rocblas_haxpy_mod_8_kernelILi256E19rocblas_complex_numIdEPKPKS1_PKPS1_EviT0_lT1_llT2_lli.numbered_sgpr, 22
	.set _ZL26rocblas_haxpy_mod_8_kernelILi256E19rocblas_complex_numIdEPKPKS1_PKPS1_EviT0_lT1_llT2_lli.num_named_barrier, 0
	.set _ZL26rocblas_haxpy_mod_8_kernelILi256E19rocblas_complex_numIdEPKPKS1_PKPS1_EviT0_lT1_llT2_lli.private_seg_size, 0
	.set _ZL26rocblas_haxpy_mod_8_kernelILi256E19rocblas_complex_numIdEPKPKS1_PKPS1_EviT0_lT1_llT2_lli.uses_vcc, 1
	.set _ZL26rocblas_haxpy_mod_8_kernelILi256E19rocblas_complex_numIdEPKPKS1_PKPS1_EviT0_lT1_llT2_lli.uses_flat_scratch, 0
	.set _ZL26rocblas_haxpy_mod_8_kernelILi256E19rocblas_complex_numIdEPKPKS1_PKPS1_EviT0_lT1_llT2_lli.has_dyn_sized_stack, 0
	.set _ZL26rocblas_haxpy_mod_8_kernelILi256E19rocblas_complex_numIdEPKPKS1_PKPS1_EviT0_lT1_llT2_lli.has_recursion, 0
	.set _ZL26rocblas_haxpy_mod_8_kernelILi256E19rocblas_complex_numIdEPKPKS1_PKPS1_EviT0_lT1_llT2_lli.has_indirect_call, 0
	.section	.AMDGPU.csdata,"",@progbits
; Kernel info:
; codeLenInByte = 380
; TotalNumSgprs: 24
; NumVgprs: 14
; ScratchSize: 0
; MemoryBound: 0
; FloatMode: 240
; IeeeMode: 1
; LDSByteSize: 0 bytes/workgroup (compile time only)
; SGPRBlocks: 0
; VGPRBlocks: 0
; NumSGPRsForWavesPerEU: 24
; NumVGPRsForWavesPerEU: 14
; NamedBarCnt: 0
; Occupancy: 16
; WaveLimiterHint : 1
; COMPUTE_PGM_RSRC2:SCRATCH_EN: 0
; COMPUTE_PGM_RSRC2:USER_SGPR: 2
; COMPUTE_PGM_RSRC2:TRAP_HANDLER: 0
; COMPUTE_PGM_RSRC2:TGID_X_EN: 1
; COMPUTE_PGM_RSRC2:TGID_Y_EN: 0
; COMPUTE_PGM_RSRC2:TGID_Z_EN: 1
; COMPUTE_PGM_RSRC2:TIDIG_COMP_CNT: 0
	.section	.text._ZL22rocblas_saxpy_2_kernelILi256E19rocblas_complex_numIdEPKS1_PKS3_PKPS1_EviT1_lT2_llT3_lli,"axG",@progbits,_ZL22rocblas_saxpy_2_kernelILi256E19rocblas_complex_numIdEPKS1_PKS3_PKPS1_EviT1_lT2_llT3_lli,comdat
	.globl	_ZL22rocblas_saxpy_2_kernelILi256E19rocblas_complex_numIdEPKS1_PKS3_PKPS1_EviT1_lT2_llT3_lli ; -- Begin function _ZL22rocblas_saxpy_2_kernelILi256E19rocblas_complex_numIdEPKS1_PKS3_PKPS1_EviT1_lT2_llT3_lli
	.p2align	8
	.type	_ZL22rocblas_saxpy_2_kernelILi256E19rocblas_complex_numIdEPKS1_PKS3_PKPS1_EviT1_lT2_llT3_lli,@function
_ZL22rocblas_saxpy_2_kernelILi256E19rocblas_complex_numIdEPKS1_PKS3_PKPS1_EviT1_lT2_llT3_lli: ; @_ZL22rocblas_saxpy_2_kernelILi256E19rocblas_complex_numIdEPKS1_PKS3_PKPS1_EviT1_lT2_llT3_lli
; %bb.0:
	s_load_b32 s16, s[0:1], 0x48
	s_bfe_u32 s2, ttmp6, 0x40014
	s_lshr_b32 s3, ttmp7, 16
	s_add_co_i32 s2, s2, 1
	s_bfe_u32 s4, ttmp6, 0x40008
	s_mul_i32 s2, s3, s2
	s_getreg_b32 s17, hwreg(HW_REG_IB_STS2, 6, 4)
	s_add_co_i32 s4, s4, s2
	s_cmp_eq_u32 s17, 0
	s_cselect_b32 s2, s3, s4
	s_mov_b32 s3, 0
	s_wait_kmcnt 0x0
	s_cmp_ge_u32 s2, s16
	s_cbranch_scc1 .LBB112_9
; %bb.1:
	s_clause 0x1
	s_load_b32 s18, s[0:1], 0x0
	s_load_b256 s[4:11], s[0:1], 0x8
	s_bfe_u32 s19, ttmp6, 0x4000c
	s_load_b128 s[12:15], s[0:1], 0x30
	s_add_co_i32 s19, s19, 1
	s_wait_xcnt 0x0
	s_and_b32 s0, ttmp6, 15
	s_mul_i32 s1, ttmp9, s19
	v_dual_mov_b32 v5, 0 :: v_dual_lshlrev_b32 v0, 1, v0
	s_add_co_i32 s0, s0, s1
	s_cmp_eq_u32 s17, 0
	s_cselect_b32 s0, ttmp9, s0
	s_delay_alu instid0(VALU_DEP_1) | instid1(SALU_CYCLE_1)
	v_lshl_or_b32 v4, s0, 9, v0
	s_delay_alu instid0(VALU_DEP_1) | instskip(SKIP_2) | instid1(SALU_CYCLE_1)
	v_lshlrev_b64_e32 v[6:7], 4, v[4:5]
	s_wait_kmcnt 0x0
	s_add_co_i32 s0, s18, -1
	s_ashr_i32 s1, s0, 31
	s_bitcmp1_b32 s18, 0
	v_cmp_eq_u64_e32 vcc_lo, s[0:1], v[4:5]
	v_cmp_gt_i64_e64 s0, s[0:1], v[4:5]
	s_cselect_b32 s1, -1, 0
	s_lshl_b64 s[10:11], s[10:11], 4
	s_lshl_b64 s[14:15], s[14:15], 4
	s_and_b32 s17, s1, vcc_lo
	s_branch .LBB112_4
.LBB112_2:                              ;   in Loop: Header=BB112_4 Depth=1
	s_wait_xcnt 0x0
	s_or_b32 exec_lo, exec_lo, s1
.LBB112_3:                              ;   in Loop: Header=BB112_4 Depth=1
	s_add_co_i32 s2, s2, 0x10000
	s_delay_alu instid0(SALU_CYCLE_1)
	s_cmp_lt_u32 s2, s16
	s_cbranch_scc0 .LBB112_9
.LBB112_4:                              ; =>This Inner Loop Header: Depth=1
	s_wait_xcnt 0x0
	s_mul_u64 s[18:19], s[6:7], s[2:3]
	s_delay_alu instid0(SALU_CYCLE_1) | instskip(NEXT) | instid1(SALU_CYCLE_1)
	s_lshl_b64 s[18:19], s[18:19], 4
	s_add_nc_u64 s[18:19], s[4:5], s[18:19]
	global_load_b128 v[0:3], v5, s[18:19]
	s_wait_loadcnt 0x0
	v_cmp_neq_f64_e32 vcc_lo, 0, v[0:1]
	v_cmp_neq_f64_e64 s1, 0, v[2:3]
	s_or_b32 s1, vcc_lo, s1
	s_delay_alu instid0(SALU_CYCLE_1)
	s_and_not1_b32 vcc_lo, exec_lo, s1
	s_cbranch_vccnz .LBB112_3
; %bb.5:                                ;   in Loop: Header=BB112_4 Depth=1
	s_wait_xcnt 0x0
	s_lshl_b64 s[18:19], s[2:3], 3
	s_delay_alu instid0(SALU_CYCLE_1)
	s_add_nc_u64 s[20:21], s[12:13], s[18:19]
	s_add_nc_u64 s[18:19], s[8:9], s[18:19]
	s_load_b64 s[22:23], s[20:21], 0x0
	s_load_b64 s[24:25], s[18:19], 0x0
	s_wait_kmcnt 0x0
	s_wait_xcnt 0x0
	s_add_nc_u64 s[18:19], s[22:23], s[14:15]
	s_add_nc_u64 s[20:21], s[24:25], s[10:11]
	v_add_nc_u64_e32 v[8:9], s[18:19], v[6:7]
	v_add_nc_u64_e32 v[10:11], s[20:21], v[6:7]
	s_and_saveexec_b32 s1, s0
	s_cbranch_execz .LBB112_7
; %bb.6:                                ;   in Loop: Header=BB112_4 Depth=1
	flat_load_b128 v[12:15], v[10:11]
	flat_load_b128 v[16:19], v[8:9]
	s_wait_loadcnt_dscnt 0x101
	v_mul_f64_e32 v[20:21], v[2:3], v[14:15]
	v_mul_f64_e32 v[22:23], v[0:1], v[14:15]
	s_delay_alu instid0(VALU_DEP_2) | instskip(NEXT) | instid1(VALU_DEP_2)
	v_fma_f64 v[20:21], v[0:1], v[12:13], -v[20:21]
	v_fmac_f64_e32 v[22:23], v[2:3], v[12:13]
	flat_load_b128 v[12:15], v[8:9] offset:16
	s_wait_loadcnt_dscnt 0x101
	v_add_f64_e32 v[16:17], v[16:17], v[20:21]
	v_add_f64_e32 v[18:19], v[22:23], v[18:19]
	flat_store_b128 v[8:9], v[16:19]
	flat_load_b128 v[16:19], v[10:11] offset:16
	s_wait_loadcnt_dscnt 0x0
	v_mul_f64_e32 v[20:21], v[2:3], v[18:19]
	v_mul_f64_e32 v[18:19], v[0:1], v[18:19]
	s_delay_alu instid0(VALU_DEP_2) | instskip(NEXT) | instid1(VALU_DEP_2)
	v_fma_f64 v[20:21], v[0:1], v[16:17], -v[20:21]
	v_fmac_f64_e32 v[18:19], v[2:3], v[16:17]
	s_delay_alu instid0(VALU_DEP_2) | instskip(NEXT) | instid1(VALU_DEP_2)
	v_add_f64_e32 v[12:13], v[12:13], v[20:21]
	v_add_f64_e32 v[14:15], v[18:19], v[14:15]
	flat_store_b128 v[8:9], v[12:15] offset:16
.LBB112_7:                              ;   in Loop: Header=BB112_4 Depth=1
	s_wait_xcnt 0x0
	s_or_b32 exec_lo, exec_lo, s1
	s_and_saveexec_b32 s1, s17
	s_cbranch_execz .LBB112_2
; %bb.8:                                ;   in Loop: Header=BB112_4 Depth=1
	flat_load_b128 v[12:15], v[10:11]
	flat_load_b128 v[16:19], v[8:9]
	s_wait_loadcnt_dscnt 0x101
	s_wait_xcnt 0x1
	v_mul_f64_e32 v[10:11], v[2:3], v[14:15]
	v_mul_f64_e32 v[14:15], v[0:1], v[14:15]
	s_delay_alu instid0(VALU_DEP_2) | instskip(NEXT) | instid1(VALU_DEP_2)
	v_fma_f64 v[0:1], v[0:1], v[12:13], -v[10:11]
	v_fmac_f64_e32 v[14:15], v[2:3], v[12:13]
	s_wait_loadcnt_dscnt 0x0
	s_delay_alu instid0(VALU_DEP_2) | instskip(NEXT) | instid1(VALU_DEP_2)
	v_add_f64_e32 v[0:1], v[16:17], v[0:1]
	v_add_f64_e32 v[2:3], v[14:15], v[18:19]
	flat_store_b128 v[8:9], v[0:3]
	s_branch .LBB112_2
.LBB112_9:
	s_endpgm
	.section	.rodata,"a",@progbits
	.p2align	6, 0x0
	.amdhsa_kernel _ZL22rocblas_saxpy_2_kernelILi256E19rocblas_complex_numIdEPKS1_PKS3_PKPS1_EviT1_lT2_llT3_lli
		.amdhsa_group_segment_fixed_size 0
		.amdhsa_private_segment_fixed_size 0
		.amdhsa_kernarg_size 76
		.amdhsa_user_sgpr_count 2
		.amdhsa_user_sgpr_dispatch_ptr 0
		.amdhsa_user_sgpr_queue_ptr 0
		.amdhsa_user_sgpr_kernarg_segment_ptr 1
		.amdhsa_user_sgpr_dispatch_id 0
		.amdhsa_user_sgpr_kernarg_preload_length 0
		.amdhsa_user_sgpr_kernarg_preload_offset 0
		.amdhsa_user_sgpr_private_segment_size 0
		.amdhsa_wavefront_size32 1
		.amdhsa_uses_dynamic_stack 0
		.amdhsa_enable_private_segment 0
		.amdhsa_system_sgpr_workgroup_id_x 1
		.amdhsa_system_sgpr_workgroup_id_y 0
		.amdhsa_system_sgpr_workgroup_id_z 1
		.amdhsa_system_sgpr_workgroup_info 0
		.amdhsa_system_vgpr_workitem_id 0
		.amdhsa_next_free_vgpr 24
		.amdhsa_next_free_sgpr 26
		.amdhsa_named_barrier_count 0
		.amdhsa_reserve_vcc 1
		.amdhsa_float_round_mode_32 0
		.amdhsa_float_round_mode_16_64 0
		.amdhsa_float_denorm_mode_32 3
		.amdhsa_float_denorm_mode_16_64 3
		.amdhsa_fp16_overflow 0
		.amdhsa_memory_ordered 1
		.amdhsa_forward_progress 1
		.amdhsa_inst_pref_size 5
		.amdhsa_round_robin_scheduling 0
		.amdhsa_exception_fp_ieee_invalid_op 0
		.amdhsa_exception_fp_denorm_src 0
		.amdhsa_exception_fp_ieee_div_zero 0
		.amdhsa_exception_fp_ieee_overflow 0
		.amdhsa_exception_fp_ieee_underflow 0
		.amdhsa_exception_fp_ieee_inexact 0
		.amdhsa_exception_int_div_zero 0
	.end_amdhsa_kernel
	.section	.text._ZL22rocblas_saxpy_2_kernelILi256E19rocblas_complex_numIdEPKS1_PKS3_PKPS1_EviT1_lT2_llT3_lli,"axG",@progbits,_ZL22rocblas_saxpy_2_kernelILi256E19rocblas_complex_numIdEPKS1_PKS3_PKPS1_EviT1_lT2_llT3_lli,comdat
.Lfunc_end112:
	.size	_ZL22rocblas_saxpy_2_kernelILi256E19rocblas_complex_numIdEPKS1_PKS3_PKPS1_EviT1_lT2_llT3_lli, .Lfunc_end112-_ZL22rocblas_saxpy_2_kernelILi256E19rocblas_complex_numIdEPKS1_PKS3_PKPS1_EviT1_lT2_llT3_lli
                                        ; -- End function
	.set _ZL22rocblas_saxpy_2_kernelILi256E19rocblas_complex_numIdEPKS1_PKS3_PKPS1_EviT1_lT2_llT3_lli.num_vgpr, 24
	.set _ZL22rocblas_saxpy_2_kernelILi256E19rocblas_complex_numIdEPKS1_PKS3_PKPS1_EviT1_lT2_llT3_lli.num_agpr, 0
	.set _ZL22rocblas_saxpy_2_kernelILi256E19rocblas_complex_numIdEPKS1_PKS3_PKPS1_EviT1_lT2_llT3_lli.numbered_sgpr, 26
	.set _ZL22rocblas_saxpy_2_kernelILi256E19rocblas_complex_numIdEPKS1_PKS3_PKPS1_EviT1_lT2_llT3_lli.num_named_barrier, 0
	.set _ZL22rocblas_saxpy_2_kernelILi256E19rocblas_complex_numIdEPKS1_PKS3_PKPS1_EviT1_lT2_llT3_lli.private_seg_size, 0
	.set _ZL22rocblas_saxpy_2_kernelILi256E19rocblas_complex_numIdEPKS1_PKS3_PKPS1_EviT1_lT2_llT3_lli.uses_vcc, 1
	.set _ZL22rocblas_saxpy_2_kernelILi256E19rocblas_complex_numIdEPKS1_PKS3_PKPS1_EviT1_lT2_llT3_lli.uses_flat_scratch, 0
	.set _ZL22rocblas_saxpy_2_kernelILi256E19rocblas_complex_numIdEPKS1_PKS3_PKPS1_EviT1_lT2_llT3_lli.has_dyn_sized_stack, 0
	.set _ZL22rocblas_saxpy_2_kernelILi256E19rocblas_complex_numIdEPKS1_PKS3_PKPS1_EviT1_lT2_llT3_lli.has_recursion, 0
	.set _ZL22rocblas_saxpy_2_kernelILi256E19rocblas_complex_numIdEPKS1_PKS3_PKPS1_EviT1_lT2_llT3_lli.has_indirect_call, 0
	.section	.AMDGPU.csdata,"",@progbits
; Kernel info:
; codeLenInByte = 628
; TotalNumSgprs: 28
; NumVgprs: 24
; ScratchSize: 0
; MemoryBound: 0
; FloatMode: 240
; IeeeMode: 1
; LDSByteSize: 0 bytes/workgroup (compile time only)
; SGPRBlocks: 0
; VGPRBlocks: 1
; NumSGPRsForWavesPerEU: 28
; NumVGPRsForWavesPerEU: 24
; NamedBarCnt: 0
; Occupancy: 16
; WaveLimiterHint : 1
; COMPUTE_PGM_RSRC2:SCRATCH_EN: 0
; COMPUTE_PGM_RSRC2:USER_SGPR: 2
; COMPUTE_PGM_RSRC2:TRAP_HANDLER: 0
; COMPUTE_PGM_RSRC2:TGID_X_EN: 1
; COMPUTE_PGM_RSRC2:TGID_Y_EN: 0
; COMPUTE_PGM_RSRC2:TGID_Z_EN: 1
; COMPUTE_PGM_RSRC2:TIDIG_COMP_CNT: 0
	.section	.text._ZL22rocblas_saxpy_2_kernelILi256E19rocblas_complex_numIdES1_PKPKS1_PKPS1_EviT1_lT2_llT3_lli,"axG",@progbits,_ZL22rocblas_saxpy_2_kernelILi256E19rocblas_complex_numIdES1_PKPKS1_PKPS1_EviT1_lT2_llT3_lli,comdat
	.globl	_ZL22rocblas_saxpy_2_kernelILi256E19rocblas_complex_numIdES1_PKPKS1_PKPS1_EviT1_lT2_llT3_lli ; -- Begin function _ZL22rocblas_saxpy_2_kernelILi256E19rocblas_complex_numIdES1_PKPKS1_PKPS1_EviT1_lT2_llT3_lli
	.p2align	8
	.type	_ZL22rocblas_saxpy_2_kernelILi256E19rocblas_complex_numIdES1_PKPKS1_PKPS1_EviT1_lT2_llT3_lli,@function
_ZL22rocblas_saxpy_2_kernelILi256E19rocblas_complex_numIdES1_PKPKS1_PKPS1_EviT1_lT2_llT3_lli: ; @_ZL22rocblas_saxpy_2_kernelILi256E19rocblas_complex_numIdES1_PKPKS1_PKPS1_EviT1_lT2_llT3_lli
; %bb.0:
	s_load_b32 s16, s[0:1], 0x50
	s_bfe_u32 s2, ttmp6, 0x40014
	s_lshr_b32 s3, ttmp7, 16
	s_add_co_i32 s2, s2, 1
	s_bfe_u32 s5, ttmp6, 0x40008
	s_mul_i32 s4, s3, s2
	s_getreg_b32 s2, hwreg(HW_REG_IB_STS2, 6, 4)
	s_add_co_i32 s5, s5, s4
	s_cmp_eq_u32 s2, 0
	s_cselect_b32 s17, s3, s5
	s_wait_kmcnt 0x0
	s_cmp_ge_u32 s17, s16
	s_cbranch_scc1 .LBB113_9
; %bb.1:
	s_clause 0x1
	s_load_b128 s[4:7], s[0:1], 0x8
	s_load_b32 s19, s[0:1], 0x0
	s_bfe_u32 s20, ttmp6, 0x4000c
	s_clause 0x1
	s_load_b128 s[8:11], s[0:1], 0x20
	s_load_b128 s[12:15], s[0:1], 0x38
	s_add_co_i32 s20, s20, 1
	s_wait_xcnt 0x0
	s_and_b32 s0, ttmp6, 15
	s_mul_i32 s1, ttmp9, s20
	v_dual_mov_b32 v3, 0 :: v_dual_lshlrev_b32 v0, 1, v0
	s_add_co_i32 s0, s0, s1
	s_cmp_eq_u32 s2, 0
	s_cselect_b32 s0, ttmp9, s0
	s_delay_alu instid0(VALU_DEP_1) | instid1(SALU_CYCLE_1)
	v_lshl_or_b32 v2, s0, 9, v0
	s_delay_alu instid0(VALU_DEP_1) | instskip(SKIP_4) | instid1(SALU_CYCLE_1)
	v_lshlrev_b64_e32 v[0:1], 4, v[2:3]
	s_wait_kmcnt 0x0
	v_cmp_neq_f64_e64 s3, s[4:5], 0
	v_cmp_neq_f64_e64 s18, s[6:7], 0
	s_add_co_i32 s0, s19, -1
	s_ashr_i32 s1, s0, 31
	s_delay_alu instid0(SALU_CYCLE_1)
	v_cmp_eq_u64_e32 vcc_lo, s[0:1], v[2:3]
	v_cmp_gt_i64_e64 s0, s[0:1], v[2:3]
	s_or_b32 s1, s3, s18
	s_bitcmp1_b32 s19, 0
	s_cselect_b32 s18, -1, 0
	s_lshl_b64 s[2:3], s[10:11], 4
	s_and_b32 s18, s18, vcc_lo
	s_lshl_b64 s[10:11], s[14:15], 4
	s_branch .LBB113_4
.LBB113_2:                              ;   in Loop: Header=BB113_4 Depth=1
	s_wait_xcnt 0x0
	s_or_b32 exec_lo, exec_lo, s14
.LBB113_3:                              ;   in Loop: Header=BB113_4 Depth=1
	s_add_co_i32 s17, s17, 0x10000
	s_delay_alu instid0(SALU_CYCLE_1)
	s_cmp_lt_u32 s17, s16
	s_cbranch_scc0 .LBB113_9
.LBB113_4:                              ; =>This Inner Loop Header: Depth=1
	s_and_not1_b32 vcc_lo, exec_lo, s1
	s_cbranch_vccnz .LBB113_3
; %bb.5:                                ;   in Loop: Header=BB113_4 Depth=1
	s_load_b64 s[14:15], s[12:13], s17 offset:0x0 scale_offset
	s_load_b64 s[20:21], s[8:9], s17 offset:0x0 scale_offset
	s_wait_kmcnt 0x0
	s_add_nc_u64 s[14:15], s[14:15], s[10:11]
	s_add_nc_u64 s[20:21], s[20:21], s[2:3]
	v_add_nc_u64_e32 v[2:3], s[14:15], v[0:1]
	v_add_nc_u64_e32 v[4:5], s[20:21], v[0:1]
	s_and_saveexec_b32 s14, s0
	s_cbranch_execz .LBB113_7
; %bb.6:                                ;   in Loop: Header=BB113_4 Depth=1
	flat_load_b128 v[6:9], v[4:5]
	flat_load_b128 v[10:13], v[2:3]
	s_wait_loadcnt_dscnt 0x101
	v_mul_f64_e32 v[14:15], s[6:7], v[8:9]
	v_mul_f64_e32 v[16:17], s[4:5], v[8:9]
	s_delay_alu instid0(VALU_DEP_2) | instskip(NEXT) | instid1(VALU_DEP_2)
	v_fma_f64 v[14:15], s[4:5], v[6:7], -v[14:15]
	v_fmac_f64_e32 v[16:17], s[6:7], v[6:7]
	flat_load_b128 v[6:9], v[2:3] offset:16
	s_wait_loadcnt_dscnt 0x101
	v_add_f64_e32 v[10:11], v[10:11], v[14:15]
	v_add_f64_e32 v[12:13], v[16:17], v[12:13]
	flat_store_b128 v[2:3], v[10:13]
	flat_load_b128 v[10:13], v[4:5] offset:16
	s_wait_loadcnt_dscnt 0x0
	v_mul_f64_e32 v[14:15], s[6:7], v[12:13]
	v_mul_f64_e32 v[12:13], s[4:5], v[12:13]
	s_delay_alu instid0(VALU_DEP_2) | instskip(NEXT) | instid1(VALU_DEP_2)
	v_fma_f64 v[14:15], s[4:5], v[10:11], -v[14:15]
	v_fmac_f64_e32 v[12:13], s[6:7], v[10:11]
	s_delay_alu instid0(VALU_DEP_2) | instskip(NEXT) | instid1(VALU_DEP_2)
	v_add_f64_e32 v[6:7], v[6:7], v[14:15]
	v_add_f64_e32 v[8:9], v[12:13], v[8:9]
	flat_store_b128 v[2:3], v[6:9] offset:16
.LBB113_7:                              ;   in Loop: Header=BB113_4 Depth=1
	s_wait_xcnt 0x0
	s_or_b32 exec_lo, exec_lo, s14
	s_and_saveexec_b32 s14, s18
	s_cbranch_execz .LBB113_2
; %bb.8:                                ;   in Loop: Header=BB113_4 Depth=1
	flat_load_b128 v[6:9], v[4:5]
	flat_load_b128 v[10:13], v[2:3]
	s_wait_loadcnt_dscnt 0x101
	s_wait_xcnt 0x1
	v_mul_f64_e32 v[4:5], s[6:7], v[8:9]
	v_mul_f64_e32 v[8:9], s[4:5], v[8:9]
	s_delay_alu instid0(VALU_DEP_2) | instskip(NEXT) | instid1(VALU_DEP_2)
	v_fma_f64 v[4:5], s[4:5], v[6:7], -v[4:5]
	v_fmac_f64_e32 v[8:9], s[6:7], v[6:7]
	s_wait_loadcnt_dscnt 0x0
	s_delay_alu instid0(VALU_DEP_2) | instskip(NEXT) | instid1(VALU_DEP_2)
	v_add_f64_e32 v[4:5], v[10:11], v[4:5]
	v_add_f64_e32 v[6:7], v[8:9], v[12:13]
	flat_store_b128 v[2:3], v[4:7]
	s_branch .LBB113_2
.LBB113_9:
	s_endpgm
	.section	.rodata,"a",@progbits
	.p2align	6, 0x0
	.amdhsa_kernel _ZL22rocblas_saxpy_2_kernelILi256E19rocblas_complex_numIdES1_PKPKS1_PKPS1_EviT1_lT2_llT3_lli
		.amdhsa_group_segment_fixed_size 0
		.amdhsa_private_segment_fixed_size 0
		.amdhsa_kernarg_size 84
		.amdhsa_user_sgpr_count 2
		.amdhsa_user_sgpr_dispatch_ptr 0
		.amdhsa_user_sgpr_queue_ptr 0
		.amdhsa_user_sgpr_kernarg_segment_ptr 1
		.amdhsa_user_sgpr_dispatch_id 0
		.amdhsa_user_sgpr_kernarg_preload_length 0
		.amdhsa_user_sgpr_kernarg_preload_offset 0
		.amdhsa_user_sgpr_private_segment_size 0
		.amdhsa_wavefront_size32 1
		.amdhsa_uses_dynamic_stack 0
		.amdhsa_enable_private_segment 0
		.amdhsa_system_sgpr_workgroup_id_x 1
		.amdhsa_system_sgpr_workgroup_id_y 0
		.amdhsa_system_sgpr_workgroup_id_z 1
		.amdhsa_system_sgpr_workgroup_info 0
		.amdhsa_system_vgpr_workitem_id 0
		.amdhsa_next_free_vgpr 18
		.amdhsa_next_free_sgpr 22
		.amdhsa_named_barrier_count 0
		.amdhsa_reserve_vcc 1
		.amdhsa_float_round_mode_32 0
		.amdhsa_float_round_mode_16_64 0
		.amdhsa_float_denorm_mode_32 3
		.amdhsa_float_denorm_mode_16_64 3
		.amdhsa_fp16_overflow 0
		.amdhsa_memory_ordered 1
		.amdhsa_forward_progress 1
		.amdhsa_inst_pref_size 5
		.amdhsa_round_robin_scheduling 0
		.amdhsa_exception_fp_ieee_invalid_op 0
		.amdhsa_exception_fp_denorm_src 0
		.amdhsa_exception_fp_ieee_div_zero 0
		.amdhsa_exception_fp_ieee_overflow 0
		.amdhsa_exception_fp_ieee_underflow 0
		.amdhsa_exception_fp_ieee_inexact 0
		.amdhsa_exception_int_div_zero 0
	.end_amdhsa_kernel
	.section	.text._ZL22rocblas_saxpy_2_kernelILi256E19rocblas_complex_numIdES1_PKPKS1_PKPS1_EviT1_lT2_llT3_lli,"axG",@progbits,_ZL22rocblas_saxpy_2_kernelILi256E19rocblas_complex_numIdES1_PKPKS1_PKPS1_EviT1_lT2_llT3_lli,comdat
.Lfunc_end113:
	.size	_ZL22rocblas_saxpy_2_kernelILi256E19rocblas_complex_numIdES1_PKPKS1_PKPS1_EviT1_lT2_llT3_lli, .Lfunc_end113-_ZL22rocblas_saxpy_2_kernelILi256E19rocblas_complex_numIdES1_PKPKS1_PKPS1_EviT1_lT2_llT3_lli
                                        ; -- End function
	.set _ZL22rocblas_saxpy_2_kernelILi256E19rocblas_complex_numIdES1_PKPKS1_PKPS1_EviT1_lT2_llT3_lli.num_vgpr, 18
	.set _ZL22rocblas_saxpy_2_kernelILi256E19rocblas_complex_numIdES1_PKPKS1_PKPS1_EviT1_lT2_llT3_lli.num_agpr, 0
	.set _ZL22rocblas_saxpy_2_kernelILi256E19rocblas_complex_numIdES1_PKPKS1_PKPS1_EviT1_lT2_llT3_lli.numbered_sgpr, 22
	.set _ZL22rocblas_saxpy_2_kernelILi256E19rocblas_complex_numIdES1_PKPKS1_PKPS1_EviT1_lT2_llT3_lli.num_named_barrier, 0
	.set _ZL22rocblas_saxpy_2_kernelILi256E19rocblas_complex_numIdES1_PKPKS1_PKPS1_EviT1_lT2_llT3_lli.private_seg_size, 0
	.set _ZL22rocblas_saxpy_2_kernelILi256E19rocblas_complex_numIdES1_PKPKS1_PKPS1_EviT1_lT2_llT3_lli.uses_vcc, 1
	.set _ZL22rocblas_saxpy_2_kernelILi256E19rocblas_complex_numIdES1_PKPKS1_PKPS1_EviT1_lT2_llT3_lli.uses_flat_scratch, 0
	.set _ZL22rocblas_saxpy_2_kernelILi256E19rocblas_complex_numIdES1_PKPKS1_PKPS1_EviT1_lT2_llT3_lli.has_dyn_sized_stack, 0
	.set _ZL22rocblas_saxpy_2_kernelILi256E19rocblas_complex_numIdES1_PKPKS1_PKPS1_EviT1_lT2_llT3_lli.has_recursion, 0
	.set _ZL22rocblas_saxpy_2_kernelILi256E19rocblas_complex_numIdES1_PKPKS1_PKPS1_EviT1_lT2_llT3_lli.has_indirect_call, 0
	.section	.AMDGPU.csdata,"",@progbits
; Kernel info:
; codeLenInByte = 580
; TotalNumSgprs: 24
; NumVgprs: 18
; ScratchSize: 0
; MemoryBound: 0
; FloatMode: 240
; IeeeMode: 1
; LDSByteSize: 0 bytes/workgroup (compile time only)
; SGPRBlocks: 0
; VGPRBlocks: 1
; NumSGPRsForWavesPerEU: 24
; NumVGPRsForWavesPerEU: 18
; NamedBarCnt: 0
; Occupancy: 16
; WaveLimiterHint : 1
; COMPUTE_PGM_RSRC2:SCRATCH_EN: 0
; COMPUTE_PGM_RSRC2:USER_SGPR: 2
; COMPUTE_PGM_RSRC2:TRAP_HANDLER: 0
; COMPUTE_PGM_RSRC2:TGID_X_EN: 1
; COMPUTE_PGM_RSRC2:TGID_Y_EN: 0
; COMPUTE_PGM_RSRC2:TGID_Z_EN: 1
; COMPUTE_PGM_RSRC2:TIDIG_COMP_CNT: 0
	.section	.text._ZL27rocblas_axpy_kernel_batchedIiLi128ELi8E19rocblas_complex_numIdEPKS1_PKS3_PKPS1_EviT3_lT4_lT_lT5_lSB_li,"axG",@progbits,_ZL27rocblas_axpy_kernel_batchedIiLi128ELi8E19rocblas_complex_numIdEPKS1_PKS3_PKPS1_EviT3_lT4_lT_lT5_lSB_li,comdat
	.globl	_ZL27rocblas_axpy_kernel_batchedIiLi128ELi8E19rocblas_complex_numIdEPKS1_PKS3_PKPS1_EviT3_lT4_lT_lT5_lSB_li ; -- Begin function _ZL27rocblas_axpy_kernel_batchedIiLi128ELi8E19rocblas_complex_numIdEPKS1_PKS3_PKPS1_EviT3_lT4_lT_lT5_lSB_li
	.p2align	8
	.type	_ZL27rocblas_axpy_kernel_batchedIiLi128ELi8E19rocblas_complex_numIdEPKS1_PKS3_PKPS1_EviT3_lT4_lT_lT5_lSB_li,@function
_ZL27rocblas_axpy_kernel_batchedIiLi128ELi8E19rocblas_complex_numIdEPKS1_PKS3_PKPS1_EviT3_lT4_lT_lT5_lSB_li: ; @_ZL27rocblas_axpy_kernel_batchedIiLi128ELi8E19rocblas_complex_numIdEPKS1_PKS3_PKPS1_EviT3_lT4_lT_lT5_lSB_li
; %bb.0:
	s_load_b32 s4, s[0:1], 0x0
	s_bfe_u32 s2, ttmp6, 0x4000c
	s_and_b32 s5, ttmp6, 15
	s_add_co_i32 s2, s2, 1
	s_getreg_b32 s3, hwreg(HW_REG_IB_STS2, 6, 4)
	s_mul_i32 s2, ttmp9, s2
	v_and_b32_e32 v1, 0x3ff, v0
	s_add_co_i32 s2, s5, s2
	v_mov_b32_e32 v3, 0
	s_wait_kmcnt 0x0
	s_ashr_i32 s5, s4, 31
	s_cmp_eq_u32 s3, 0
	s_cselect_b32 s2, ttmp9, s2
	s_delay_alu instid0(SALU_CYCLE_1) | instskip(SKIP_1) | instid1(VALU_DEP_1)
	v_lshl_add_u32 v2, s2, 7, v1
	s_mov_b32 s2, exec_lo
	v_cmpx_gt_i64_e64 s[4:5], v[2:3]
	s_cbranch_execz .LBB114_15
; %bb.1:
	s_load_b32 s2, s[0:1], 0x58
	s_bfe_u32 s4, ttmp6, 0x40014
	v_lshrrev_b32_e32 v0, 8, v0
	s_lshr_b32 s5, ttmp7, 16
	s_add_co_i32 s4, s4, 1
	s_bfe_u32 s6, ttmp6, 0x40008
	s_mul_i32 s4, s5, s4
	v_and_b32_e32 v0, 0xffc, v0
	s_add_co_i32 s6, s6, s4
	s_cmp_eq_u32 s3, 0
	s_cselect_b32 s3, s5, s6
	s_delay_alu instid0(VALU_DEP_1) | instid1(SALU_CYCLE_1)
	v_lshl_add_u32 v4, s3, 5, v0
	s_wait_kmcnt 0x0
	s_delay_alu instid0(VALU_DEP_1)
	v_cmp_gt_u32_e32 vcc_lo, s2, v4
	s_and_b32 exec_lo, exec_lo, vcc_lo
	s_cbranch_execz .LBB114_15
; %bb.2:
	s_clause 0x3
	s_load_b32 s4, s[0:1], 0x28
	s_load_b32 s6, s[0:1], 0x48
	s_load_b128 s[12:15], s[0:1], 0x38
	s_load_b32 s3, s[0:1], 0x68
	v_mov_b32_e32 v5, 0
	s_wait_kmcnt 0x0
	s_ashr_i32 s5, s4, 31
	s_ashr_i32 s7, s6, 31
	v_mul_u64_e32 v[6:7], s[4:5], v[2:3]
	v_mul_u64_e32 v[8:9], s[6:7], v[2:3]
	s_load_b256 s[4:11], s[0:1], 0x8
	s_wait_xcnt 0x0
	s_lshl_b32 s1, s3, 5
	s_mov_b32 s3, 0
	s_branch .LBB114_4
.LBB114_3:                              ;   in Loop: Header=BB114_4 Depth=1
	s_wait_xcnt 0x0
	s_or_b32 exec_lo, exec_lo, s16
	v_add_nc_u32_e32 v4, s1, v4
	s_delay_alu instid0(VALU_DEP_1) | instskip(SKIP_1) | instid1(SALU_CYCLE_1)
	v_cmp_le_u32_e32 vcc_lo, s2, v4
	s_or_b32 s3, vcc_lo, s3
	s_and_not1_b32 exec_lo, exec_lo, s3
	s_cbranch_execz .LBB114_15
.LBB114_4:                              ; =>This Inner Loop Header: Depth=1
	s_wait_kmcnt 0x0
	v_mul_u64_e32 v[0:1], s[6:7], v[4:5]
	s_delay_alu instid0(VALU_DEP_1)
	v_lshl_add_u64 v[0:1], v[0:1], 4, s[4:5]
	global_load_b128 v[0:3], v[0:1], off
	s_wait_loadcnt 0x0
	v_cmp_neq_f64_e32 vcc_lo, 0, v[0:1]
	v_cmp_neq_f64_e64 s0, 0, v[2:3]
	s_or_b32 s16, vcc_lo, s0
	s_wait_xcnt 0x0
	s_and_saveexec_b32 s0, s16
	s_cbranch_execz .LBB114_6
; %bb.5:                                ;   in Loop: Header=BB114_4 Depth=1
	v_lshlrev_b64_e32 v[10:11], 3, v[4:5]
	s_delay_alu instid0(VALU_DEP_1)
	v_add_nc_u64_e32 v[12:13], s[8:9], v[10:11]
	v_add_nc_u64_e32 v[10:11], s[12:13], v[10:11]
	global_load_b64 v[12:13], v[12:13], off
	global_load_b64 v[14:15], v[10:11], off
	s_wait_loadcnt 0x1
	s_wait_xcnt 0x0
	v_lshl_add_u64 v[10:11], s[10:11], 4, v[12:13]
	s_wait_loadcnt 0x0
	v_lshl_add_u64 v[14:15], s[14:15], 4, v[14:15]
	s_delay_alu instid0(VALU_DEP_2) | instskip(NEXT) | instid1(VALU_DEP_2)
	v_lshl_add_u64 v[10:11], v[6:7], 4, v[10:11]
	v_lshl_add_u64 v[18:19], v[8:9], 4, v[14:15]
	flat_load_b128 v[10:13], v[10:11]
	flat_load_b128 v[14:17], v[18:19]
	s_wait_loadcnt_dscnt 0x101
	v_mul_f64_e32 v[20:21], v[2:3], v[12:13]
	v_mul_f64_e32 v[12:13], v[0:1], v[12:13]
	s_delay_alu instid0(VALU_DEP_2) | instskip(NEXT) | instid1(VALU_DEP_2)
	v_fma_f64 v[0:1], v[0:1], v[10:11], -v[20:21]
	v_fmac_f64_e32 v[12:13], v[2:3], v[10:11]
	s_wait_loadcnt_dscnt 0x0
	s_delay_alu instid0(VALU_DEP_2) | instskip(NEXT) | instid1(VALU_DEP_2)
	v_add_f64_e32 v[0:1], v[14:15], v[0:1]
	v_add_f64_e32 v[2:3], v[12:13], v[16:17]
	flat_store_b128 v[18:19], v[0:3]
.LBB114_6:                              ;   in Loop: Header=BB114_4 Depth=1
	s_wait_xcnt 0x0
	s_or_b32 exec_lo, exec_lo, s0
	v_add_nc_u32_e32 v0, 1, v4
	s_mov_b32 s16, exec_lo
	s_delay_alu instid0(VALU_DEP_1)
	v_cmpx_gt_u32_e64 s2, v0
	s_cbranch_execz .LBB114_9
; %bb.7:                                ;   in Loop: Header=BB114_4 Depth=1
	v_mov_b32_e32 v1, v5
	s_delay_alu instid0(VALU_DEP_1) | instskip(NEXT) | instid1(VALU_DEP_1)
	v_mul_u64_e32 v[0:1], s[6:7], v[0:1]
	v_lshl_add_u64 v[0:1], v[0:1], 4, s[4:5]
	global_load_b128 v[0:3], v[0:1], off
	s_wait_loadcnt 0x0
	v_cmp_neq_f64_e32 vcc_lo, 0, v[0:1]
	v_cmp_neq_f64_e64 s0, 0, v[2:3]
	s_or_b32 s0, vcc_lo, s0
	s_wait_xcnt 0x0
	s_and_b32 exec_lo, exec_lo, s0
	s_cbranch_execz .LBB114_9
; %bb.8:                                ;   in Loop: Header=BB114_4 Depth=1
	v_lshlrev_b64_e32 v[10:11], 3, v[4:5]
	s_delay_alu instid0(VALU_DEP_1)
	v_add_nc_u64_e32 v[12:13], s[8:9], v[10:11]
	v_add_nc_u64_e32 v[10:11], s[12:13], v[10:11]
	global_load_b64 v[12:13], v[12:13], off offset:8
	global_load_b64 v[14:15], v[10:11], off offset:8
	s_wait_loadcnt 0x1
	s_wait_xcnt 0x0
	v_lshl_add_u64 v[10:11], s[10:11], 4, v[12:13]
	s_wait_loadcnt 0x0
	v_lshl_add_u64 v[14:15], s[14:15], 4, v[14:15]
	s_delay_alu instid0(VALU_DEP_2) | instskip(NEXT) | instid1(VALU_DEP_2)
	v_lshl_add_u64 v[10:11], v[6:7], 4, v[10:11]
	v_lshl_add_u64 v[18:19], v[8:9], 4, v[14:15]
	flat_load_b128 v[10:13], v[10:11]
	flat_load_b128 v[14:17], v[18:19]
	s_wait_loadcnt_dscnt 0x101
	v_mul_f64_e32 v[20:21], v[2:3], v[12:13]
	v_mul_f64_e32 v[12:13], v[0:1], v[12:13]
	s_delay_alu instid0(VALU_DEP_2) | instskip(NEXT) | instid1(VALU_DEP_2)
	v_fma_f64 v[0:1], v[0:1], v[10:11], -v[20:21]
	v_fmac_f64_e32 v[12:13], v[2:3], v[10:11]
	s_wait_loadcnt_dscnt 0x0
	s_delay_alu instid0(VALU_DEP_2) | instskip(NEXT) | instid1(VALU_DEP_2)
	v_add_f64_e32 v[0:1], v[14:15], v[0:1]
	v_add_f64_e32 v[2:3], v[12:13], v[16:17]
	flat_store_b128 v[18:19], v[0:3]
.LBB114_9:                              ;   in Loop: Header=BB114_4 Depth=1
	s_wait_xcnt 0x0
	s_or_b32 exec_lo, exec_lo, s16
	v_add_nc_u32_e32 v0, 2, v4
	s_mov_b32 s16, exec_lo
	s_delay_alu instid0(VALU_DEP_1)
	v_cmpx_gt_u32_e64 s2, v0
	s_cbranch_execz .LBB114_12
; %bb.10:                               ;   in Loop: Header=BB114_4 Depth=1
	v_mov_b32_e32 v1, v5
	s_delay_alu instid0(VALU_DEP_1) | instskip(NEXT) | instid1(VALU_DEP_1)
	v_mul_u64_e32 v[0:1], s[6:7], v[0:1]
	v_lshl_add_u64 v[0:1], v[0:1], 4, s[4:5]
	global_load_b128 v[0:3], v[0:1], off
	s_wait_loadcnt 0x0
	v_cmp_neq_f64_e32 vcc_lo, 0, v[0:1]
	v_cmp_neq_f64_e64 s0, 0, v[2:3]
	s_or_b32 s0, vcc_lo, s0
	s_wait_xcnt 0x0
	s_and_b32 exec_lo, exec_lo, s0
	s_cbranch_execz .LBB114_12
; %bb.11:                               ;   in Loop: Header=BB114_4 Depth=1
	v_lshlrev_b64_e32 v[10:11], 3, v[4:5]
	s_delay_alu instid0(VALU_DEP_1)
	v_add_nc_u64_e32 v[12:13], s[8:9], v[10:11]
	v_add_nc_u64_e32 v[10:11], s[12:13], v[10:11]
	global_load_b64 v[12:13], v[12:13], off offset:16
	global_load_b64 v[14:15], v[10:11], off offset:16
	s_wait_loadcnt 0x1
	s_wait_xcnt 0x0
	v_lshl_add_u64 v[10:11], s[10:11], 4, v[12:13]
	s_wait_loadcnt 0x0
	v_lshl_add_u64 v[14:15], s[14:15], 4, v[14:15]
	s_delay_alu instid0(VALU_DEP_2) | instskip(NEXT) | instid1(VALU_DEP_2)
	v_lshl_add_u64 v[10:11], v[6:7], 4, v[10:11]
	v_lshl_add_u64 v[18:19], v[8:9], 4, v[14:15]
	flat_load_b128 v[10:13], v[10:11]
	flat_load_b128 v[14:17], v[18:19]
	s_wait_loadcnt_dscnt 0x101
	v_mul_f64_e32 v[20:21], v[2:3], v[12:13]
	v_mul_f64_e32 v[12:13], v[0:1], v[12:13]
	s_delay_alu instid0(VALU_DEP_2) | instskip(NEXT) | instid1(VALU_DEP_2)
	v_fma_f64 v[0:1], v[0:1], v[10:11], -v[20:21]
	v_fmac_f64_e32 v[12:13], v[2:3], v[10:11]
	s_wait_loadcnt_dscnt 0x0
	s_delay_alu instid0(VALU_DEP_2) | instskip(NEXT) | instid1(VALU_DEP_2)
	v_add_f64_e32 v[0:1], v[14:15], v[0:1]
	v_add_f64_e32 v[2:3], v[12:13], v[16:17]
	flat_store_b128 v[18:19], v[0:3]
.LBB114_12:                             ;   in Loop: Header=BB114_4 Depth=1
	s_wait_xcnt 0x0
	s_or_b32 exec_lo, exec_lo, s16
	v_add_nc_u32_e32 v0, 3, v4
	s_mov_b32 s16, exec_lo
	s_delay_alu instid0(VALU_DEP_1)
	v_cmpx_gt_u32_e64 s2, v0
	s_cbranch_execz .LBB114_3
; %bb.13:                               ;   in Loop: Header=BB114_4 Depth=1
	v_mov_b32_e32 v1, v5
	s_delay_alu instid0(VALU_DEP_1) | instskip(NEXT) | instid1(VALU_DEP_1)
	v_mul_u64_e32 v[0:1], s[6:7], v[0:1]
	v_lshl_add_u64 v[0:1], v[0:1], 4, s[4:5]
	global_load_b128 v[0:3], v[0:1], off
	s_wait_loadcnt 0x0
	v_cmp_neq_f64_e32 vcc_lo, 0, v[0:1]
	v_cmp_neq_f64_e64 s0, 0, v[2:3]
	s_or_b32 s0, vcc_lo, s0
	s_wait_xcnt 0x0
	s_and_b32 exec_lo, exec_lo, s0
	s_cbranch_execz .LBB114_3
; %bb.14:                               ;   in Loop: Header=BB114_4 Depth=1
	v_lshlrev_b64_e32 v[10:11], 3, v[4:5]
	s_delay_alu instid0(VALU_DEP_1)
	v_add_nc_u64_e32 v[12:13], s[8:9], v[10:11]
	v_add_nc_u64_e32 v[10:11], s[12:13], v[10:11]
	global_load_b64 v[12:13], v[12:13], off offset:24
	global_load_b64 v[14:15], v[10:11], off offset:24
	s_wait_loadcnt 0x1
	s_wait_xcnt 0x0
	v_lshl_add_u64 v[10:11], s[10:11], 4, v[12:13]
	s_wait_loadcnt 0x0
	v_lshl_add_u64 v[14:15], s[14:15], 4, v[14:15]
	s_delay_alu instid0(VALU_DEP_2) | instskip(NEXT) | instid1(VALU_DEP_2)
	v_lshl_add_u64 v[10:11], v[6:7], 4, v[10:11]
	v_lshl_add_u64 v[18:19], v[8:9], 4, v[14:15]
	flat_load_b128 v[10:13], v[10:11]
	flat_load_b128 v[14:17], v[18:19]
	s_wait_loadcnt_dscnt 0x101
	v_mul_f64_e32 v[20:21], v[2:3], v[12:13]
	v_mul_f64_e32 v[12:13], v[0:1], v[12:13]
	s_delay_alu instid0(VALU_DEP_2) | instskip(NEXT) | instid1(VALU_DEP_2)
	v_fma_f64 v[0:1], v[0:1], v[10:11], -v[20:21]
	v_fmac_f64_e32 v[12:13], v[2:3], v[10:11]
	s_wait_loadcnt_dscnt 0x0
	s_delay_alu instid0(VALU_DEP_2) | instskip(NEXT) | instid1(VALU_DEP_2)
	v_add_f64_e32 v[0:1], v[14:15], v[0:1]
	v_add_f64_e32 v[2:3], v[12:13], v[16:17]
	flat_store_b128 v[18:19], v[0:3]
	s_branch .LBB114_3
.LBB114_15:
	s_endpgm
	.section	.rodata,"a",@progbits
	.p2align	6, 0x0
	.amdhsa_kernel _ZL27rocblas_axpy_kernel_batchedIiLi128ELi8E19rocblas_complex_numIdEPKS1_PKS3_PKPS1_EviT3_lT4_lT_lT5_lSB_li
		.amdhsa_group_segment_fixed_size 0
		.amdhsa_private_segment_fixed_size 0
		.amdhsa_kernarg_size 352
		.amdhsa_user_sgpr_count 2
		.amdhsa_user_sgpr_dispatch_ptr 0
		.amdhsa_user_sgpr_queue_ptr 0
		.amdhsa_user_sgpr_kernarg_segment_ptr 1
		.amdhsa_user_sgpr_dispatch_id 0
		.amdhsa_user_sgpr_kernarg_preload_length 0
		.amdhsa_user_sgpr_kernarg_preload_offset 0
		.amdhsa_user_sgpr_private_segment_size 0
		.amdhsa_wavefront_size32 1
		.amdhsa_uses_dynamic_stack 0
		.amdhsa_enable_private_segment 0
		.amdhsa_system_sgpr_workgroup_id_x 1
		.amdhsa_system_sgpr_workgroup_id_y 0
		.amdhsa_system_sgpr_workgroup_id_z 1
		.amdhsa_system_sgpr_workgroup_info 0
		.amdhsa_system_vgpr_workitem_id 1
		.amdhsa_next_free_vgpr 22
		.amdhsa_next_free_sgpr 17
		.amdhsa_named_barrier_count 0
		.amdhsa_reserve_vcc 1
		.amdhsa_float_round_mode_32 0
		.amdhsa_float_round_mode_16_64 0
		.amdhsa_float_denorm_mode_32 3
		.amdhsa_float_denorm_mode_16_64 3
		.amdhsa_fp16_overflow 0
		.amdhsa_memory_ordered 1
		.amdhsa_forward_progress 1
		.amdhsa_inst_pref_size 11
		.amdhsa_round_robin_scheduling 0
		.amdhsa_exception_fp_ieee_invalid_op 0
		.amdhsa_exception_fp_denorm_src 0
		.amdhsa_exception_fp_ieee_div_zero 0
		.amdhsa_exception_fp_ieee_overflow 0
		.amdhsa_exception_fp_ieee_underflow 0
		.amdhsa_exception_fp_ieee_inexact 0
		.amdhsa_exception_int_div_zero 0
	.end_amdhsa_kernel
	.section	.text._ZL27rocblas_axpy_kernel_batchedIiLi128ELi8E19rocblas_complex_numIdEPKS1_PKS3_PKPS1_EviT3_lT4_lT_lT5_lSB_li,"axG",@progbits,_ZL27rocblas_axpy_kernel_batchedIiLi128ELi8E19rocblas_complex_numIdEPKS1_PKS3_PKPS1_EviT3_lT4_lT_lT5_lSB_li,comdat
.Lfunc_end114:
	.size	_ZL27rocblas_axpy_kernel_batchedIiLi128ELi8E19rocblas_complex_numIdEPKS1_PKS3_PKPS1_EviT3_lT4_lT_lT5_lSB_li, .Lfunc_end114-_ZL27rocblas_axpy_kernel_batchedIiLi128ELi8E19rocblas_complex_numIdEPKS1_PKS3_PKPS1_EviT3_lT4_lT_lT5_lSB_li
                                        ; -- End function
	.set _ZL27rocblas_axpy_kernel_batchedIiLi128ELi8E19rocblas_complex_numIdEPKS1_PKS3_PKPS1_EviT3_lT4_lT_lT5_lSB_li.num_vgpr, 22
	.set _ZL27rocblas_axpy_kernel_batchedIiLi128ELi8E19rocblas_complex_numIdEPKS1_PKS3_PKPS1_EviT3_lT4_lT_lT5_lSB_li.num_agpr, 0
	.set _ZL27rocblas_axpy_kernel_batchedIiLi128ELi8E19rocblas_complex_numIdEPKS1_PKS3_PKPS1_EviT3_lT4_lT_lT5_lSB_li.numbered_sgpr, 17
	.set _ZL27rocblas_axpy_kernel_batchedIiLi128ELi8E19rocblas_complex_numIdEPKS1_PKS3_PKPS1_EviT3_lT4_lT_lT5_lSB_li.num_named_barrier, 0
	.set _ZL27rocblas_axpy_kernel_batchedIiLi128ELi8E19rocblas_complex_numIdEPKS1_PKS3_PKPS1_EviT3_lT4_lT_lT5_lSB_li.private_seg_size, 0
	.set _ZL27rocblas_axpy_kernel_batchedIiLi128ELi8E19rocblas_complex_numIdEPKS1_PKS3_PKPS1_EviT3_lT4_lT_lT5_lSB_li.uses_vcc, 1
	.set _ZL27rocblas_axpy_kernel_batchedIiLi128ELi8E19rocblas_complex_numIdEPKS1_PKS3_PKPS1_EviT3_lT4_lT_lT5_lSB_li.uses_flat_scratch, 0
	.set _ZL27rocblas_axpy_kernel_batchedIiLi128ELi8E19rocblas_complex_numIdEPKS1_PKS3_PKPS1_EviT3_lT4_lT_lT5_lSB_li.has_dyn_sized_stack, 0
	.set _ZL27rocblas_axpy_kernel_batchedIiLi128ELi8E19rocblas_complex_numIdEPKS1_PKS3_PKPS1_EviT3_lT4_lT_lT5_lSB_li.has_recursion, 0
	.set _ZL27rocblas_axpy_kernel_batchedIiLi128ELi8E19rocblas_complex_numIdEPKS1_PKS3_PKPS1_EviT3_lT4_lT_lT5_lSB_li.has_indirect_call, 0
	.section	.AMDGPU.csdata,"",@progbits
; Kernel info:
; codeLenInByte = 1332
; TotalNumSgprs: 19
; NumVgprs: 22
; ScratchSize: 0
; MemoryBound: 0
; FloatMode: 240
; IeeeMode: 1
; LDSByteSize: 0 bytes/workgroup (compile time only)
; SGPRBlocks: 0
; VGPRBlocks: 1
; NumSGPRsForWavesPerEU: 19
; NumVGPRsForWavesPerEU: 22
; NamedBarCnt: 0
; Occupancy: 16
; WaveLimiterHint : 1
; COMPUTE_PGM_RSRC2:SCRATCH_EN: 0
; COMPUTE_PGM_RSRC2:USER_SGPR: 2
; COMPUTE_PGM_RSRC2:TRAP_HANDLER: 0
; COMPUTE_PGM_RSRC2:TGID_X_EN: 1
; COMPUTE_PGM_RSRC2:TGID_Y_EN: 0
; COMPUTE_PGM_RSRC2:TGID_Z_EN: 1
; COMPUTE_PGM_RSRC2:TIDIG_COMP_CNT: 1
	.section	.text._ZL27rocblas_axpy_kernel_batchedIiLi128ELi8E19rocblas_complex_numIdES1_PKPKS1_PKPS1_EviT3_lT4_lT_lT5_lSB_li,"axG",@progbits,_ZL27rocblas_axpy_kernel_batchedIiLi128ELi8E19rocblas_complex_numIdES1_PKPKS1_PKPS1_EviT3_lT4_lT_lT5_lSB_li,comdat
	.globl	_ZL27rocblas_axpy_kernel_batchedIiLi128ELi8E19rocblas_complex_numIdES1_PKPKS1_PKPS1_EviT3_lT4_lT_lT5_lSB_li ; -- Begin function _ZL27rocblas_axpy_kernel_batchedIiLi128ELi8E19rocblas_complex_numIdES1_PKPKS1_PKPS1_EviT3_lT4_lT_lT5_lSB_li
	.p2align	8
	.type	_ZL27rocblas_axpy_kernel_batchedIiLi128ELi8E19rocblas_complex_numIdES1_PKPKS1_PKPS1_EviT3_lT4_lT_lT5_lSB_li,@function
_ZL27rocblas_axpy_kernel_batchedIiLi128ELi8E19rocblas_complex_numIdES1_PKPKS1_PKPS1_EviT3_lT4_lT_lT5_lSB_li: ; @_ZL27rocblas_axpy_kernel_batchedIiLi128ELi8E19rocblas_complex_numIdES1_PKPKS1_PKPS1_EviT3_lT4_lT_lT5_lSB_li
; %bb.0:
	s_load_b32 s4, s[0:1], 0x0
	s_bfe_u32 s2, ttmp6, 0x4000c
	s_and_b32 s5, ttmp6, 15
	s_add_co_i32 s2, s2, 1
	s_getreg_b32 s3, hwreg(HW_REG_IB_STS2, 6, 4)
	s_mul_i32 s2, ttmp9, s2
	v_and_b32_e32 v1, 0x3ff, v0
	s_add_co_i32 s2, s5, s2
	v_mov_b32_e32 v3, 0
	s_wait_kmcnt 0x0
	s_ashr_i32 s5, s4, 31
	s_cmp_eq_u32 s3, 0
	s_cselect_b32 s2, ttmp9, s2
	s_delay_alu instid0(SALU_CYCLE_1) | instskip(SKIP_1) | instid1(VALU_DEP_1)
	v_lshl_add_u32 v2, s2, 7, v1
	s_mov_b32 s2, exec_lo
	v_cmpx_gt_i64_e64 s[4:5], v[2:3]
	s_cbranch_execz .LBB115_12
; %bb.1:
	s_load_b32 s2, s[0:1], 0x60
	s_bfe_u32 s4, ttmp6, 0x40014
	v_lshrrev_b32_e32 v0, 8, v0
	s_lshr_b32 s5, ttmp7, 16
	s_add_co_i32 s4, s4, 1
	s_bfe_u32 s6, ttmp6, 0x40008
	s_mul_i32 s4, s5, s4
	v_and_b32_e32 v0, 0xffc, v0
	s_add_co_i32 s6, s6, s4
	s_cmp_eq_u32 s3, 0
	s_cselect_b32 s3, s5, s6
	s_delay_alu instid0(VALU_DEP_1) | instid1(SALU_CYCLE_1)
	v_lshl_add_u32 v4, s3, 5, v0
	s_wait_kmcnt 0x0
	s_delay_alu instid0(VALU_DEP_1)
	v_cmp_gt_u32_e32 vcc_lo, s2, v4
	s_and_b32 exec_lo, exec_lo, vcc_lo
	s_cbranch_execz .LBB115_12
; %bb.2:
	s_clause 0x5
	s_load_b128 s[4:7], s[0:1], 0x8
	s_load_b32 s16, s[0:1], 0x30
	s_load_b32 s18, s[0:1], 0x50
	s_load_b128 s[8:11], s[0:1], 0x20
	s_load_b128 s[12:15], s[0:1], 0x40
	s_load_b32 s21, s[0:1], 0x70
	s_wait_kmcnt 0x0
	v_cmp_eq_f64_e64 s3, s[4:5], 0
	v_cmp_eq_f64_e64 s20, s[6:7], 0
	s_ashr_i32 s17, s16, 31
	s_ashr_i32 s19, s18, 31
	v_mul_u64_e32 v[0:1], s[16:17], v[2:3]
	v_mul_u64_e32 v[2:3], s[18:19], v[2:3]
	s_lshl_b32 s1, s21, 5
	s_and_b32 s0, s3, s20
	s_mov_b32 s3, 0
	s_xor_b32 s0, s0, -1
	s_branch .LBB115_4
.LBB115_3:                              ;   in Loop: Header=BB115_4 Depth=1
	s_wait_xcnt 0x0
	s_or_b32 exec_lo, exec_lo, s16
	v_add_nc_u32_e32 v4, s1, v4
	s_delay_alu instid0(VALU_DEP_1) | instskip(SKIP_1) | instid1(SALU_CYCLE_1)
	v_cmp_le_u32_e32 vcc_lo, s2, v4
	s_or_b32 s3, vcc_lo, s3
	s_and_not1_b32 exec_lo, exec_lo, s3
	s_cbranch_execz .LBB115_12
.LBB115_4:                              ; =>This Inner Loop Header: Depth=1
	s_and_not1_b32 vcc_lo, exec_lo, s0
	s_cbranch_vccnz .LBB115_6
; %bb.5:                                ;   in Loop: Header=BB115_4 Depth=1
	s_clause 0x1
	global_load_b64 v[6:7], v4, s[8:9] scale_offset
	global_load_b64 v[10:11], v4, s[12:13] scale_offset
	s_wait_loadcnt 0x1
	v_lshl_add_u64 v[6:7], s[10:11], 4, v[6:7]
	s_wait_loadcnt 0x0
	v_lshl_add_u64 v[10:11], s[14:15], 4, v[10:11]
	s_delay_alu instid0(VALU_DEP_2) | instskip(NEXT) | instid1(VALU_DEP_2)
	v_lshl_add_u64 v[6:7], v[0:1], 4, v[6:7]
	v_lshl_add_u64 v[14:15], v[2:3], 4, v[10:11]
	flat_load_b128 v[6:9], v[6:7]
	flat_load_b128 v[10:13], v[14:15]
	s_wait_loadcnt_dscnt 0x101
	v_mul_f64_e32 v[16:17], s[6:7], v[8:9]
	v_mul_f64_e32 v[8:9], s[4:5], v[8:9]
	s_delay_alu instid0(VALU_DEP_2) | instskip(NEXT) | instid1(VALU_DEP_2)
	v_fma_f64 v[16:17], s[4:5], v[6:7], -v[16:17]
	v_fmac_f64_e32 v[8:9], s[6:7], v[6:7]
	s_wait_loadcnt_dscnt 0x0
	s_wait_xcnt 0x1
	s_delay_alu instid0(VALU_DEP_2) | instskip(NEXT) | instid1(VALU_DEP_2)
	v_add_f64_e32 v[6:7], v[10:11], v[16:17]
	v_add_f64_e32 v[8:9], v[8:9], v[12:13]
	flat_store_b128 v[14:15], v[6:9]
.LBB115_6:                              ;   in Loop: Header=BB115_4 Depth=1
	v_add_nc_u32_e32 v5, 1, v4
	s_delay_alu instid0(VALU_DEP_1)
	v_cmp_gt_u32_e32 vcc_lo, s2, v5
	s_and_b32 s17, vcc_lo, s0
	s_wait_xcnt 0x0
	s_and_saveexec_b32 s16, s17
	s_cbranch_execz .LBB115_8
; %bb.7:                                ;   in Loop: Header=BB115_4 Depth=1
	s_clause 0x1
	global_load_b64 v[6:7], v4, s[8:9] offset:8 scale_offset
	global_load_b64 v[10:11], v4, s[12:13] offset:8 scale_offset
	s_wait_loadcnt 0x1
	v_lshl_add_u64 v[6:7], s[10:11], 4, v[6:7]
	s_wait_loadcnt 0x0
	v_lshl_add_u64 v[10:11], s[14:15], 4, v[10:11]
	s_delay_alu instid0(VALU_DEP_2) | instskip(NEXT) | instid1(VALU_DEP_2)
	v_lshl_add_u64 v[6:7], v[0:1], 4, v[6:7]
	v_lshl_add_u64 v[14:15], v[2:3], 4, v[10:11]
	flat_load_b128 v[6:9], v[6:7]
	flat_load_b128 v[10:13], v[14:15]
	s_wait_loadcnt_dscnt 0x101
	v_mul_f64_e32 v[16:17], s[6:7], v[8:9]
	v_mul_f64_e32 v[8:9], s[4:5], v[8:9]
	s_delay_alu instid0(VALU_DEP_2) | instskip(NEXT) | instid1(VALU_DEP_2)
	v_fma_f64 v[16:17], s[4:5], v[6:7], -v[16:17]
	v_fmac_f64_e32 v[8:9], s[6:7], v[6:7]
	s_wait_loadcnt_dscnt 0x0
	s_wait_xcnt 0x1
	s_delay_alu instid0(VALU_DEP_2) | instskip(NEXT) | instid1(VALU_DEP_2)
	v_add_f64_e32 v[6:7], v[10:11], v[16:17]
	v_add_f64_e32 v[8:9], v[8:9], v[12:13]
	flat_store_b128 v[14:15], v[6:9]
.LBB115_8:                              ;   in Loop: Header=BB115_4 Depth=1
	s_wait_xcnt 0x0
	s_or_b32 exec_lo, exec_lo, s16
	v_add_nc_u32_e32 v5, 2, v4
	s_delay_alu instid0(VALU_DEP_1) | instskip(SKIP_1) | instid1(SALU_CYCLE_1)
	v_cmp_gt_u32_e32 vcc_lo, s2, v5
	s_and_b32 s17, vcc_lo, s0
	s_and_saveexec_b32 s16, s17
	s_cbranch_execz .LBB115_10
; %bb.9:                                ;   in Loop: Header=BB115_4 Depth=1
	s_clause 0x1
	global_load_b64 v[6:7], v4, s[8:9] offset:16 scale_offset
	global_load_b64 v[10:11], v4, s[12:13] offset:16 scale_offset
	s_wait_loadcnt 0x1
	v_lshl_add_u64 v[6:7], s[10:11], 4, v[6:7]
	s_wait_loadcnt 0x0
	v_lshl_add_u64 v[10:11], s[14:15], 4, v[10:11]
	s_delay_alu instid0(VALU_DEP_2) | instskip(NEXT) | instid1(VALU_DEP_2)
	v_lshl_add_u64 v[6:7], v[0:1], 4, v[6:7]
	v_lshl_add_u64 v[14:15], v[2:3], 4, v[10:11]
	flat_load_b128 v[6:9], v[6:7]
	flat_load_b128 v[10:13], v[14:15]
	s_wait_loadcnt_dscnt 0x101
	v_mul_f64_e32 v[16:17], s[6:7], v[8:9]
	v_mul_f64_e32 v[8:9], s[4:5], v[8:9]
	s_delay_alu instid0(VALU_DEP_2) | instskip(NEXT) | instid1(VALU_DEP_2)
	v_fma_f64 v[16:17], s[4:5], v[6:7], -v[16:17]
	v_fmac_f64_e32 v[8:9], s[6:7], v[6:7]
	s_wait_loadcnt_dscnt 0x0
	s_wait_xcnt 0x1
	s_delay_alu instid0(VALU_DEP_2) | instskip(NEXT) | instid1(VALU_DEP_2)
	v_add_f64_e32 v[6:7], v[10:11], v[16:17]
	v_add_f64_e32 v[8:9], v[8:9], v[12:13]
	flat_store_b128 v[14:15], v[6:9]
.LBB115_10:                             ;   in Loop: Header=BB115_4 Depth=1
	s_wait_xcnt 0x0
	s_or_b32 exec_lo, exec_lo, s16
	v_add_nc_u32_e32 v5, 3, v4
	s_delay_alu instid0(VALU_DEP_1) | instskip(SKIP_1) | instid1(SALU_CYCLE_1)
	v_cmp_gt_u32_e32 vcc_lo, s2, v5
	s_and_b32 s17, vcc_lo, s0
	s_and_saveexec_b32 s16, s17
	s_cbranch_execz .LBB115_3
; %bb.11:                               ;   in Loop: Header=BB115_4 Depth=1
	s_clause 0x1
	global_load_b64 v[6:7], v4, s[8:9] offset:24 scale_offset
	global_load_b64 v[10:11], v4, s[12:13] offset:24 scale_offset
	s_wait_loadcnt 0x1
	v_lshl_add_u64 v[6:7], s[10:11], 4, v[6:7]
	s_wait_loadcnt 0x0
	v_lshl_add_u64 v[10:11], s[14:15], 4, v[10:11]
	s_delay_alu instid0(VALU_DEP_2) | instskip(NEXT) | instid1(VALU_DEP_2)
	v_lshl_add_u64 v[6:7], v[0:1], 4, v[6:7]
	v_lshl_add_u64 v[14:15], v[2:3], 4, v[10:11]
	flat_load_b128 v[6:9], v[6:7]
	flat_load_b128 v[10:13], v[14:15]
	s_wait_loadcnt_dscnt 0x101
	v_mul_f64_e32 v[16:17], s[6:7], v[8:9]
	v_mul_f64_e32 v[8:9], s[4:5], v[8:9]
	s_delay_alu instid0(VALU_DEP_2) | instskip(NEXT) | instid1(VALU_DEP_2)
	v_fma_f64 v[16:17], s[4:5], v[6:7], -v[16:17]
	v_fmac_f64_e32 v[8:9], s[6:7], v[6:7]
	s_wait_loadcnt_dscnt 0x0
	s_wait_xcnt 0x1
	s_delay_alu instid0(VALU_DEP_2) | instskip(NEXT) | instid1(VALU_DEP_2)
	v_add_f64_e32 v[6:7], v[10:11], v[16:17]
	v_add_f64_e32 v[8:9], v[8:9], v[12:13]
	flat_store_b128 v[14:15], v[6:9]
	s_branch .LBB115_3
.LBB115_12:
	s_endpgm
	.section	.rodata,"a",@progbits
	.p2align	6, 0x0
	.amdhsa_kernel _ZL27rocblas_axpy_kernel_batchedIiLi128ELi8E19rocblas_complex_numIdES1_PKPKS1_PKPS1_EviT3_lT4_lT_lT5_lSB_li
		.amdhsa_group_segment_fixed_size 0
		.amdhsa_private_segment_fixed_size 0
		.amdhsa_kernarg_size 360
		.amdhsa_user_sgpr_count 2
		.amdhsa_user_sgpr_dispatch_ptr 0
		.amdhsa_user_sgpr_queue_ptr 0
		.amdhsa_user_sgpr_kernarg_segment_ptr 1
		.amdhsa_user_sgpr_dispatch_id 0
		.amdhsa_user_sgpr_kernarg_preload_length 0
		.amdhsa_user_sgpr_kernarg_preload_offset 0
		.amdhsa_user_sgpr_private_segment_size 0
		.amdhsa_wavefront_size32 1
		.amdhsa_uses_dynamic_stack 0
		.amdhsa_enable_private_segment 0
		.amdhsa_system_sgpr_workgroup_id_x 1
		.amdhsa_system_sgpr_workgroup_id_y 0
		.amdhsa_system_sgpr_workgroup_id_z 1
		.amdhsa_system_sgpr_workgroup_info 0
		.amdhsa_system_vgpr_workitem_id 1
		.amdhsa_next_free_vgpr 18
		.amdhsa_next_free_sgpr 22
		.amdhsa_named_barrier_count 0
		.amdhsa_reserve_vcc 1
		.amdhsa_float_round_mode_32 0
		.amdhsa_float_round_mode_16_64 0
		.amdhsa_float_denorm_mode_32 3
		.amdhsa_float_denorm_mode_16_64 3
		.amdhsa_fp16_overflow 0
		.amdhsa_memory_ordered 1
		.amdhsa_forward_progress 1
		.amdhsa_inst_pref_size 9
		.amdhsa_round_robin_scheduling 0
		.amdhsa_exception_fp_ieee_invalid_op 0
		.amdhsa_exception_fp_denorm_src 0
		.amdhsa_exception_fp_ieee_div_zero 0
		.amdhsa_exception_fp_ieee_overflow 0
		.amdhsa_exception_fp_ieee_underflow 0
		.amdhsa_exception_fp_ieee_inexact 0
		.amdhsa_exception_int_div_zero 0
	.end_amdhsa_kernel
	.section	.text._ZL27rocblas_axpy_kernel_batchedIiLi128ELi8E19rocblas_complex_numIdES1_PKPKS1_PKPS1_EviT3_lT4_lT_lT5_lSB_li,"axG",@progbits,_ZL27rocblas_axpy_kernel_batchedIiLi128ELi8E19rocblas_complex_numIdES1_PKPKS1_PKPS1_EviT3_lT4_lT_lT5_lSB_li,comdat
.Lfunc_end115:
	.size	_ZL27rocblas_axpy_kernel_batchedIiLi128ELi8E19rocblas_complex_numIdES1_PKPKS1_PKPS1_EviT3_lT4_lT_lT5_lSB_li, .Lfunc_end115-_ZL27rocblas_axpy_kernel_batchedIiLi128ELi8E19rocblas_complex_numIdES1_PKPKS1_PKPS1_EviT3_lT4_lT_lT5_lSB_li
                                        ; -- End function
	.set _ZL27rocblas_axpy_kernel_batchedIiLi128ELi8E19rocblas_complex_numIdES1_PKPKS1_PKPS1_EviT3_lT4_lT_lT5_lSB_li.num_vgpr, 18
	.set _ZL27rocblas_axpy_kernel_batchedIiLi128ELi8E19rocblas_complex_numIdES1_PKPKS1_PKPS1_EviT3_lT4_lT_lT5_lSB_li.num_agpr, 0
	.set _ZL27rocblas_axpy_kernel_batchedIiLi128ELi8E19rocblas_complex_numIdES1_PKPKS1_PKPS1_EviT3_lT4_lT_lT5_lSB_li.numbered_sgpr, 22
	.set _ZL27rocblas_axpy_kernel_batchedIiLi128ELi8E19rocblas_complex_numIdES1_PKPKS1_PKPS1_EviT3_lT4_lT_lT5_lSB_li.num_named_barrier, 0
	.set _ZL27rocblas_axpy_kernel_batchedIiLi128ELi8E19rocblas_complex_numIdES1_PKPKS1_PKPS1_EviT3_lT4_lT_lT5_lSB_li.private_seg_size, 0
	.set _ZL27rocblas_axpy_kernel_batchedIiLi128ELi8E19rocblas_complex_numIdES1_PKPKS1_PKPS1_EviT3_lT4_lT_lT5_lSB_li.uses_vcc, 1
	.set _ZL27rocblas_axpy_kernel_batchedIiLi128ELi8E19rocblas_complex_numIdES1_PKPKS1_PKPS1_EviT3_lT4_lT_lT5_lSB_li.uses_flat_scratch, 0
	.set _ZL27rocblas_axpy_kernel_batchedIiLi128ELi8E19rocblas_complex_numIdES1_PKPKS1_PKPS1_EviT3_lT4_lT_lT5_lSB_li.has_dyn_sized_stack, 0
	.set _ZL27rocblas_axpy_kernel_batchedIiLi128ELi8E19rocblas_complex_numIdES1_PKPKS1_PKPS1_EviT3_lT4_lT_lT5_lSB_li.has_recursion, 0
	.set _ZL27rocblas_axpy_kernel_batchedIiLi128ELi8E19rocblas_complex_numIdES1_PKPKS1_PKPS1_EviT3_lT4_lT_lT5_lSB_li.has_indirect_call, 0
	.section	.AMDGPU.csdata,"",@progbits
; Kernel info:
; codeLenInByte = 1056
; TotalNumSgprs: 24
; NumVgprs: 18
; ScratchSize: 0
; MemoryBound: 0
; FloatMode: 240
; IeeeMode: 1
; LDSByteSize: 0 bytes/workgroup (compile time only)
; SGPRBlocks: 0
; VGPRBlocks: 1
; NumSGPRsForWavesPerEU: 24
; NumVGPRsForWavesPerEU: 18
; NamedBarCnt: 0
; Occupancy: 16
; WaveLimiterHint : 1
; COMPUTE_PGM_RSRC2:SCRATCH_EN: 0
; COMPUTE_PGM_RSRC2:USER_SGPR: 2
; COMPUTE_PGM_RSRC2:TRAP_HANDLER: 0
; COMPUTE_PGM_RSRC2:TGID_X_EN: 1
; COMPUTE_PGM_RSRC2:TGID_Y_EN: 0
; COMPUTE_PGM_RSRC2:TGID_Z_EN: 1
; COMPUTE_PGM_RSRC2:TIDIG_COMP_CNT: 1
	.section	.text._ZL19rocblas_axpy_kernelIiLi256E19rocblas_complex_numIdEPKS1_PKS3_PKPS1_EviT2_lT3_lT_lT4_lSB_li,"axG",@progbits,_ZL19rocblas_axpy_kernelIiLi256E19rocblas_complex_numIdEPKS1_PKS3_PKPS1_EviT2_lT3_lT_lT4_lSB_li,comdat
	.globl	_ZL19rocblas_axpy_kernelIiLi256E19rocblas_complex_numIdEPKS1_PKS3_PKPS1_EviT2_lT3_lT_lT4_lSB_li ; -- Begin function _ZL19rocblas_axpy_kernelIiLi256E19rocblas_complex_numIdEPKS1_PKS3_PKPS1_EviT2_lT3_lT_lT4_lSB_li
	.p2align	8
	.type	_ZL19rocblas_axpy_kernelIiLi256E19rocblas_complex_numIdEPKS1_PKS3_PKPS1_EviT2_lT3_lT_lT4_lSB_li,@function
_ZL19rocblas_axpy_kernelIiLi256E19rocblas_complex_numIdEPKS1_PKS3_PKPS1_EviT2_lT3_lT_lT4_lSB_li: ; @_ZL19rocblas_axpy_kernelIiLi256E19rocblas_complex_numIdEPKS1_PKS3_PKPS1_EviT2_lT3_lT_lT4_lSB_li
; %bb.0:
	s_load_b32 s16, s[0:1], 0x58
	s_bfe_u32 s2, ttmp6, 0x40014
	s_lshr_b32 s3, ttmp7, 16
	s_add_co_i32 s2, s2, 1
	s_bfe_u32 s5, ttmp6, 0x40008
	s_mul_i32 s2, s3, s2
	s_getreg_b32 s4, hwreg(HW_REG_IB_STS2, 6, 4)
	s_add_co_i32 s5, s5, s2
	s_cmp_eq_u32 s4, 0
	s_cselect_b32 s2, s3, s5
	s_mov_b32 s3, 0
	s_wait_kmcnt 0x0
	s_cmp_ge_u32 s2, s16
	s_cbranch_scc1 .LBB116_5
; %bb.1:
	s_clause 0x2
	s_load_b32 s18, s[0:1], 0x0
	s_load_b32 s6, s[0:1], 0x48
	;; [unrolled: 1-line block ×3, first 2 shown]
	s_bfe_u32 s5, ttmp6, 0x4000c
	s_and_b32 s7, ttmp6, 15
	s_add_co_i32 s5, s5, 1
	v_mov_b32_e32 v5, 0
	s_mul_i32 s5, ttmp9, s5
	s_delay_alu instid0(SALU_CYCLE_1)
	s_add_co_i32 s5, s7, s5
	s_wait_kmcnt 0x0
	s_ashr_i32 s19, s18, 31
	s_ashr_i32 s7, s6, 31
	;; [unrolled: 1-line block ×3, first 2 shown]
	s_cmp_eq_u32 s4, 0
	s_cselect_b32 s4, ttmp9, s5
	s_delay_alu instid0(SALU_CYCLE_1) | instskip(NEXT) | instid1(VALU_DEP_1)
	v_lshl_or_b32 v4, s4, 8, v0
	v_mul_u64_e32 v[6:7], s[8:9], v[4:5]
	v_mul_u64_e32 v[8:9], s[6:7], v[4:5]
	s_clause 0x1
	s_load_b256 s[4:11], s[0:1], 0x8
	s_load_b128 s[12:15], s[0:1], 0x38
	v_cmp_gt_i64_e32 vcc_lo, s[18:19], v[4:5]
	s_wait_kmcnt 0x0
	s_lshl_b64 s[10:11], s[10:11], 4
	s_lshl_b64 s[14:15], s[14:15], 4
	s_branch .LBB116_3
.LBB116_2:                              ;   in Loop: Header=BB116_3 Depth=1
	s_wait_xcnt 0x0
	s_or_b32 exec_lo, exec_lo, s0
	s_add_co_i32 s2, s2, 0x10000
	s_delay_alu instid0(SALU_CYCLE_1)
	s_cmp_lt_u32 s2, s16
	s_cbranch_scc0 .LBB116_5
.LBB116_3:                              ; =>This Inner Loop Header: Depth=1
	s_mul_u64 s[0:1], s[6:7], s[2:3]
	s_delay_alu instid0(SALU_CYCLE_1) | instskip(NEXT) | instid1(SALU_CYCLE_1)
	s_lshl_b64 s[0:1], s[0:1], 4
	s_add_nc_u64 s[0:1], s[4:5], s[0:1]
	global_load_b128 v[0:3], v5, s[0:1]
	s_wait_loadcnt 0x0
	s_wait_xcnt 0x0
	v_cmp_neq_f64_e64 s0, 0, v[0:1]
	v_cmp_neq_f64_e64 s1, 0, v[2:3]
	s_or_b32 s0, s0, s1
	s_delay_alu instid0(SALU_CYCLE_1) | instskip(NEXT) | instid1(SALU_CYCLE_1)
	s_and_b32 s1, vcc_lo, s0
	s_and_saveexec_b32 s0, s1
	s_cbranch_execz .LBB116_2
; %bb.4:                                ;   in Loop: Header=BB116_3 Depth=1
	s_lshl_b64 s[18:19], s[2:3], 3
	s_delay_alu instid0(SALU_CYCLE_1)
	s_add_nc_u64 s[20:21], s[8:9], s[18:19]
	s_add_nc_u64 s[18:19], s[12:13], s[18:19]
	s_load_b64 s[20:21], s[20:21], 0x0
	s_wait_kmcnt 0x0
	s_wait_xcnt 0x0
	s_add_nc_u64 s[20:21], s[20:21], s[10:11]
	s_load_b64 s[18:19], s[18:19], 0x0
	v_lshl_add_u64 v[10:11], v[6:7], 4, s[20:21]
	flat_load_b128 v[10:13], v[10:11]
	s_wait_kmcnt 0x0
	s_add_nc_u64 s[18:19], s[18:19], s[14:15]
	s_delay_alu instid0(SALU_CYCLE_1) | instskip(SKIP_4) | instid1(VALU_DEP_2)
	v_lshl_add_u64 v[18:19], v[8:9], 4, s[18:19]
	flat_load_b128 v[14:17], v[18:19]
	s_wait_loadcnt_dscnt 0x101
	v_mul_f64_e32 v[20:21], v[2:3], v[12:13]
	v_mul_f64_e32 v[12:13], v[0:1], v[12:13]
	v_fma_f64 v[0:1], v[0:1], v[10:11], -v[20:21]
	s_delay_alu instid0(VALU_DEP_2) | instskip(SKIP_1) | instid1(VALU_DEP_2)
	v_fmac_f64_e32 v[12:13], v[2:3], v[10:11]
	s_wait_loadcnt_dscnt 0x0
	v_add_f64_e32 v[0:1], v[14:15], v[0:1]
	s_delay_alu instid0(VALU_DEP_2)
	v_add_f64_e32 v[2:3], v[12:13], v[16:17]
	flat_store_b128 v[18:19], v[0:3]
	s_branch .LBB116_2
.LBB116_5:
	s_endpgm
	.section	.rodata,"a",@progbits
	.p2align	6, 0x0
	.amdhsa_kernel _ZL19rocblas_axpy_kernelIiLi256E19rocblas_complex_numIdEPKS1_PKS3_PKPS1_EviT2_lT3_lT_lT4_lSB_li
		.amdhsa_group_segment_fixed_size 0
		.amdhsa_private_segment_fixed_size 0
		.amdhsa_kernarg_size 92
		.amdhsa_user_sgpr_count 2
		.amdhsa_user_sgpr_dispatch_ptr 0
		.amdhsa_user_sgpr_queue_ptr 0
		.amdhsa_user_sgpr_kernarg_segment_ptr 1
		.amdhsa_user_sgpr_dispatch_id 0
		.amdhsa_user_sgpr_kernarg_preload_length 0
		.amdhsa_user_sgpr_kernarg_preload_offset 0
		.amdhsa_user_sgpr_private_segment_size 0
		.amdhsa_wavefront_size32 1
		.amdhsa_uses_dynamic_stack 0
		.amdhsa_enable_private_segment 0
		.amdhsa_system_sgpr_workgroup_id_x 1
		.amdhsa_system_sgpr_workgroup_id_y 0
		.amdhsa_system_sgpr_workgroup_id_z 1
		.amdhsa_system_sgpr_workgroup_info 0
		.amdhsa_system_vgpr_workitem_id 0
		.amdhsa_next_free_vgpr 22
		.amdhsa_next_free_sgpr 22
		.amdhsa_named_barrier_count 0
		.amdhsa_reserve_vcc 1
		.amdhsa_float_round_mode_32 0
		.amdhsa_float_round_mode_16_64 0
		.amdhsa_float_denorm_mode_32 3
		.amdhsa_float_denorm_mode_16_64 3
		.amdhsa_fp16_overflow 0
		.amdhsa_memory_ordered 1
		.amdhsa_forward_progress 1
		.amdhsa_inst_pref_size 4
		.amdhsa_round_robin_scheduling 0
		.amdhsa_exception_fp_ieee_invalid_op 0
		.amdhsa_exception_fp_denorm_src 0
		.amdhsa_exception_fp_ieee_div_zero 0
		.amdhsa_exception_fp_ieee_overflow 0
		.amdhsa_exception_fp_ieee_underflow 0
		.amdhsa_exception_fp_ieee_inexact 0
		.amdhsa_exception_int_div_zero 0
	.end_amdhsa_kernel
	.section	.text._ZL19rocblas_axpy_kernelIiLi256E19rocblas_complex_numIdEPKS1_PKS3_PKPS1_EviT2_lT3_lT_lT4_lSB_li,"axG",@progbits,_ZL19rocblas_axpy_kernelIiLi256E19rocblas_complex_numIdEPKS1_PKS3_PKPS1_EviT2_lT3_lT_lT4_lSB_li,comdat
.Lfunc_end116:
	.size	_ZL19rocblas_axpy_kernelIiLi256E19rocblas_complex_numIdEPKS1_PKS3_PKPS1_EviT2_lT3_lT_lT4_lSB_li, .Lfunc_end116-_ZL19rocblas_axpy_kernelIiLi256E19rocblas_complex_numIdEPKS1_PKS3_PKPS1_EviT2_lT3_lT_lT4_lSB_li
                                        ; -- End function
	.set _ZL19rocblas_axpy_kernelIiLi256E19rocblas_complex_numIdEPKS1_PKS3_PKPS1_EviT2_lT3_lT_lT4_lSB_li.num_vgpr, 22
	.set _ZL19rocblas_axpy_kernelIiLi256E19rocblas_complex_numIdEPKS1_PKS3_PKPS1_EviT2_lT3_lT_lT4_lSB_li.num_agpr, 0
	.set _ZL19rocblas_axpy_kernelIiLi256E19rocblas_complex_numIdEPKS1_PKS3_PKPS1_EviT2_lT3_lT_lT4_lSB_li.numbered_sgpr, 22
	.set _ZL19rocblas_axpy_kernelIiLi256E19rocblas_complex_numIdEPKS1_PKS3_PKPS1_EviT2_lT3_lT_lT4_lSB_li.num_named_barrier, 0
	.set _ZL19rocblas_axpy_kernelIiLi256E19rocblas_complex_numIdEPKS1_PKS3_PKPS1_EviT2_lT3_lT_lT4_lSB_li.private_seg_size, 0
	.set _ZL19rocblas_axpy_kernelIiLi256E19rocblas_complex_numIdEPKS1_PKS3_PKPS1_EviT2_lT3_lT_lT4_lSB_li.uses_vcc, 1
	.set _ZL19rocblas_axpy_kernelIiLi256E19rocblas_complex_numIdEPKS1_PKS3_PKPS1_EviT2_lT3_lT_lT4_lSB_li.uses_flat_scratch, 0
	.set _ZL19rocblas_axpy_kernelIiLi256E19rocblas_complex_numIdEPKS1_PKS3_PKPS1_EviT2_lT3_lT_lT4_lSB_li.has_dyn_sized_stack, 0
	.set _ZL19rocblas_axpy_kernelIiLi256E19rocblas_complex_numIdEPKS1_PKS3_PKPS1_EviT2_lT3_lT_lT4_lSB_li.has_recursion, 0
	.set _ZL19rocblas_axpy_kernelIiLi256E19rocblas_complex_numIdEPKS1_PKS3_PKPS1_EviT2_lT3_lT_lT4_lSB_li.has_indirect_call, 0
	.section	.AMDGPU.csdata,"",@progbits
; Kernel info:
; codeLenInByte = 472
; TotalNumSgprs: 24
; NumVgprs: 22
; ScratchSize: 0
; MemoryBound: 0
; FloatMode: 240
; IeeeMode: 1
; LDSByteSize: 0 bytes/workgroup (compile time only)
; SGPRBlocks: 0
; VGPRBlocks: 1
; NumSGPRsForWavesPerEU: 24
; NumVGPRsForWavesPerEU: 22
; NamedBarCnt: 0
; Occupancy: 16
; WaveLimiterHint : 1
; COMPUTE_PGM_RSRC2:SCRATCH_EN: 0
; COMPUTE_PGM_RSRC2:USER_SGPR: 2
; COMPUTE_PGM_RSRC2:TRAP_HANDLER: 0
; COMPUTE_PGM_RSRC2:TGID_X_EN: 1
; COMPUTE_PGM_RSRC2:TGID_Y_EN: 0
; COMPUTE_PGM_RSRC2:TGID_Z_EN: 1
; COMPUTE_PGM_RSRC2:TIDIG_COMP_CNT: 0
	.section	.text._ZL19rocblas_axpy_kernelIiLi256E19rocblas_complex_numIdES1_PKPKS1_PKPS1_EviT2_lT3_lT_lT4_lSB_li,"axG",@progbits,_ZL19rocblas_axpy_kernelIiLi256E19rocblas_complex_numIdES1_PKPKS1_PKPS1_EviT2_lT3_lT_lT4_lSB_li,comdat
	.globl	_ZL19rocblas_axpy_kernelIiLi256E19rocblas_complex_numIdES1_PKPKS1_PKPS1_EviT2_lT3_lT_lT4_lSB_li ; -- Begin function _ZL19rocblas_axpy_kernelIiLi256E19rocblas_complex_numIdES1_PKPKS1_PKPS1_EviT2_lT3_lT_lT4_lSB_li
	.p2align	8
	.type	_ZL19rocblas_axpy_kernelIiLi256E19rocblas_complex_numIdES1_PKPKS1_PKPS1_EviT2_lT3_lT_lT4_lSB_li,@function
_ZL19rocblas_axpy_kernelIiLi256E19rocblas_complex_numIdES1_PKPKS1_PKPS1_EviT2_lT3_lT_lT4_lSB_li: ; @_ZL19rocblas_axpy_kernelIiLi256E19rocblas_complex_numIdES1_PKPKS1_PKPS1_EviT2_lT3_lT_lT4_lSB_li
; %bb.0:
	s_load_b32 s16, s[0:1], 0x60
	s_bfe_u32 s2, ttmp6, 0x40014
	s_lshr_b32 s3, ttmp7, 16
	s_add_co_i32 s2, s2, 1
	s_bfe_u32 s5, ttmp6, 0x40008
	s_mul_i32 s4, s3, s2
	s_getreg_b32 s2, hwreg(HW_REG_IB_STS2, 6, 4)
	s_add_co_i32 s5, s5, s4
	s_cmp_eq_u32 s2, 0
	s_cselect_b32 s17, s3, s5
	s_wait_kmcnt 0x0
	s_cmp_ge_u32 s17, s16
	s_cbranch_scc1 .LBB117_5
; %bb.1:
	s_clause 0x3
	s_load_b32 s18, s[0:1], 0x0
	s_load_b32 s8, s[0:1], 0x30
	;; [unrolled: 1-line block ×3, first 2 shown]
	s_load_b128 s[4:7], s[0:1], 0x8
	s_bfe_u32 s3, ttmp6, 0x4000c
	s_and_b32 s9, ttmp6, 15
	s_add_co_i32 s3, s3, 1
	v_mov_b32_e32 v5, 0
	s_mul_i32 s3, ttmp9, s3
	s_delay_alu instid0(SALU_CYCLE_1)
	s_add_co_i32 s3, s9, s3
	s_wait_kmcnt 0x0
	s_ashr_i32 s19, s18, 31
	s_ashr_i32 s9, s8, 31
	;; [unrolled: 1-line block ×3, first 2 shown]
	s_cmp_eq_u32 s2, 0
	v_cmp_neq_f64_e64 s2, s[4:5], 0
	s_cselect_b32 s3, ttmp9, s3
	v_cmp_neq_f64_e64 s20, s[6:7], 0
	v_lshl_or_b32 v4, s3, 8, v0
	s_delay_alu instid0(VALU_DEP_1)
	v_mul_u64_e32 v[0:1], s[8:9], v[4:5]
	v_mul_u64_e32 v[2:3], s[10:11], v[4:5]
	s_clause 0x1
	s_load_b128 s[8:11], s[0:1], 0x20
	s_load_b128 s[12:15], s[0:1], 0x40
	v_cmp_gt_i64_e32 vcc_lo, s[18:19], v[4:5]
	s_wait_xcnt 0x0
	s_or_b32 s0, s2, s20
	s_wait_kmcnt 0x0
	s_lshl_b64 s[2:3], s[14:15], 4
	s_and_b32 s18, vcc_lo, s0
	s_lshl_b64 s[0:1], s[10:11], 4
	s_branch .LBB117_3
.LBB117_2:                              ;   in Loop: Header=BB117_3 Depth=1
	s_wait_xcnt 0x0
	s_or_b32 exec_lo, exec_lo, s10
	s_add_co_i32 s17, s17, 0x10000
	s_delay_alu instid0(SALU_CYCLE_1)
	s_cmp_lt_u32 s17, s16
	s_cbranch_scc0 .LBB117_5
.LBB117_3:                              ; =>This Inner Loop Header: Depth=1
	s_and_saveexec_b32 s10, s18
	s_cbranch_execz .LBB117_2
; %bb.4:                                ;   in Loop: Header=BB117_3 Depth=1
	s_load_b64 s[14:15], s[8:9], s17 offset:0x0 scale_offset
	s_wait_kmcnt 0x0
	s_add_nc_u64 s[14:15], s[14:15], s[0:1]
	s_delay_alu instid0(VALU_DEP_3) | instid1(SALU_CYCLE_1)
	v_lshl_add_u64 v[4:5], v[0:1], 4, s[14:15]
	s_load_b64 s[14:15], s[12:13], s17 offset:0x0 scale_offset
	flat_load_b128 v[4:7], v[4:5]
	s_wait_kmcnt 0x0
	s_add_nc_u64 s[14:15], s[14:15], s[2:3]
	s_delay_alu instid0(SALU_CYCLE_1) | instskip(SKIP_4) | instid1(VALU_DEP_2)
	v_lshl_add_u64 v[12:13], v[2:3], 4, s[14:15]
	flat_load_b128 v[8:11], v[12:13]
	s_wait_loadcnt_dscnt 0x101
	v_mul_f64_e32 v[14:15], s[6:7], v[6:7]
	v_mul_f64_e32 v[6:7], s[4:5], v[6:7]
	v_fma_f64 v[14:15], s[4:5], v[4:5], -v[14:15]
	s_delay_alu instid0(VALU_DEP_2) | instskip(SKIP_2) | instid1(VALU_DEP_2)
	v_fmac_f64_e32 v[6:7], s[6:7], v[4:5]
	s_wait_loadcnt_dscnt 0x0
	s_wait_xcnt 0x1
	v_add_f64_e32 v[4:5], v[8:9], v[14:15]
	s_delay_alu instid0(VALU_DEP_2)
	v_add_f64_e32 v[6:7], v[6:7], v[10:11]
	flat_store_b128 v[12:13], v[4:7]
	s_branch .LBB117_2
.LBB117_5:
	s_endpgm
	.section	.rodata,"a",@progbits
	.p2align	6, 0x0
	.amdhsa_kernel _ZL19rocblas_axpy_kernelIiLi256E19rocblas_complex_numIdES1_PKPKS1_PKPS1_EviT2_lT3_lT_lT4_lSB_li
		.amdhsa_group_segment_fixed_size 0
		.amdhsa_private_segment_fixed_size 0
		.amdhsa_kernarg_size 100
		.amdhsa_user_sgpr_count 2
		.amdhsa_user_sgpr_dispatch_ptr 0
		.amdhsa_user_sgpr_queue_ptr 0
		.amdhsa_user_sgpr_kernarg_segment_ptr 1
		.amdhsa_user_sgpr_dispatch_id 0
		.amdhsa_user_sgpr_kernarg_preload_length 0
		.amdhsa_user_sgpr_kernarg_preload_offset 0
		.amdhsa_user_sgpr_private_segment_size 0
		.amdhsa_wavefront_size32 1
		.amdhsa_uses_dynamic_stack 0
		.amdhsa_enable_private_segment 0
		.amdhsa_system_sgpr_workgroup_id_x 1
		.amdhsa_system_sgpr_workgroup_id_y 0
		.amdhsa_system_sgpr_workgroup_id_z 1
		.amdhsa_system_sgpr_workgroup_info 0
		.amdhsa_system_vgpr_workitem_id 0
		.amdhsa_next_free_vgpr 16
		.amdhsa_next_free_sgpr 21
		.amdhsa_named_barrier_count 0
		.amdhsa_reserve_vcc 1
		.amdhsa_float_round_mode_32 0
		.amdhsa_float_round_mode_16_64 0
		.amdhsa_float_denorm_mode_32 3
		.amdhsa_float_denorm_mode_16_64 3
		.amdhsa_fp16_overflow 0
		.amdhsa_memory_ordered 1
		.amdhsa_forward_progress 1
		.amdhsa_inst_pref_size 4
		.amdhsa_round_robin_scheduling 0
		.amdhsa_exception_fp_ieee_invalid_op 0
		.amdhsa_exception_fp_denorm_src 0
		.amdhsa_exception_fp_ieee_div_zero 0
		.amdhsa_exception_fp_ieee_overflow 0
		.amdhsa_exception_fp_ieee_underflow 0
		.amdhsa_exception_fp_ieee_inexact 0
		.amdhsa_exception_int_div_zero 0
	.end_amdhsa_kernel
	.section	.text._ZL19rocblas_axpy_kernelIiLi256E19rocblas_complex_numIdES1_PKPKS1_PKPS1_EviT2_lT3_lT_lT4_lSB_li,"axG",@progbits,_ZL19rocblas_axpy_kernelIiLi256E19rocblas_complex_numIdES1_PKPKS1_PKPS1_EviT2_lT3_lT_lT4_lSB_li,comdat
.Lfunc_end117:
	.size	_ZL19rocblas_axpy_kernelIiLi256E19rocblas_complex_numIdES1_PKPKS1_PKPS1_EviT2_lT3_lT_lT4_lSB_li, .Lfunc_end117-_ZL19rocblas_axpy_kernelIiLi256E19rocblas_complex_numIdES1_PKPKS1_PKPS1_EviT2_lT3_lT_lT4_lSB_li
                                        ; -- End function
	.set _ZL19rocblas_axpy_kernelIiLi256E19rocblas_complex_numIdES1_PKPKS1_PKPS1_EviT2_lT3_lT_lT4_lSB_li.num_vgpr, 16
	.set _ZL19rocblas_axpy_kernelIiLi256E19rocblas_complex_numIdES1_PKPKS1_PKPS1_EviT2_lT3_lT_lT4_lSB_li.num_agpr, 0
	.set _ZL19rocblas_axpy_kernelIiLi256E19rocblas_complex_numIdES1_PKPKS1_PKPS1_EviT2_lT3_lT_lT4_lSB_li.numbered_sgpr, 21
	.set _ZL19rocblas_axpy_kernelIiLi256E19rocblas_complex_numIdES1_PKPKS1_PKPS1_EviT2_lT3_lT_lT4_lSB_li.num_named_barrier, 0
	.set _ZL19rocblas_axpy_kernelIiLi256E19rocblas_complex_numIdES1_PKPKS1_PKPS1_EviT2_lT3_lT_lT4_lSB_li.private_seg_size, 0
	.set _ZL19rocblas_axpy_kernelIiLi256E19rocblas_complex_numIdES1_PKPKS1_PKPS1_EviT2_lT3_lT_lT4_lSB_li.uses_vcc, 1
	.set _ZL19rocblas_axpy_kernelIiLi256E19rocblas_complex_numIdES1_PKPKS1_PKPS1_EviT2_lT3_lT_lT4_lSB_li.uses_flat_scratch, 0
	.set _ZL19rocblas_axpy_kernelIiLi256E19rocblas_complex_numIdES1_PKPKS1_PKPS1_EviT2_lT3_lT_lT4_lSB_li.has_dyn_sized_stack, 0
	.set _ZL19rocblas_axpy_kernelIiLi256E19rocblas_complex_numIdES1_PKPKS1_PKPS1_EviT2_lT3_lT_lT4_lSB_li.has_recursion, 0
	.set _ZL19rocblas_axpy_kernelIiLi256E19rocblas_complex_numIdES1_PKPKS1_PKPS1_EviT2_lT3_lT_lT4_lSB_li.has_indirect_call, 0
	.section	.AMDGPU.csdata,"",@progbits
; Kernel info:
; codeLenInByte = 428
; TotalNumSgprs: 23
; NumVgprs: 16
; ScratchSize: 0
; MemoryBound: 0
; FloatMode: 240
; IeeeMode: 1
; LDSByteSize: 0 bytes/workgroup (compile time only)
; SGPRBlocks: 0
; VGPRBlocks: 0
; NumSGPRsForWavesPerEU: 23
; NumVGPRsForWavesPerEU: 16
; NamedBarCnt: 0
; Occupancy: 16
; WaveLimiterHint : 1
; COMPUTE_PGM_RSRC2:SCRATCH_EN: 0
; COMPUTE_PGM_RSRC2:USER_SGPR: 2
; COMPUTE_PGM_RSRC2:TRAP_HANDLER: 0
; COMPUTE_PGM_RSRC2:TGID_X_EN: 1
; COMPUTE_PGM_RSRC2:TGID_Y_EN: 0
; COMPUTE_PGM_RSRC2:TGID_Z_EN: 1
; COMPUTE_PGM_RSRC2:TIDIG_COMP_CNT: 0
	.section	.text._ZL19rocblas_axpy_kernelIlLi256E19rocblas_complex_numIdEPKS1_PKS3_PKPS1_EviT2_lT3_lT_lT4_lSB_li,"axG",@progbits,_ZL19rocblas_axpy_kernelIlLi256E19rocblas_complex_numIdEPKS1_PKS3_PKPS1_EviT2_lT3_lT_lT4_lSB_li,comdat
	.globl	_ZL19rocblas_axpy_kernelIlLi256E19rocblas_complex_numIdEPKS1_PKS3_PKPS1_EviT2_lT3_lT_lT4_lSB_li ; -- Begin function _ZL19rocblas_axpy_kernelIlLi256E19rocblas_complex_numIdEPKS1_PKS3_PKPS1_EviT2_lT3_lT_lT4_lSB_li
	.p2align	8
	.type	_ZL19rocblas_axpy_kernelIlLi256E19rocblas_complex_numIdEPKS1_PKS3_PKPS1_EviT2_lT3_lT_lT4_lSB_li,@function
_ZL19rocblas_axpy_kernelIlLi256E19rocblas_complex_numIdEPKS1_PKS3_PKPS1_EviT2_lT3_lT_lT4_lSB_li: ; @_ZL19rocblas_axpy_kernelIlLi256E19rocblas_complex_numIdEPKS1_PKS3_PKPS1_EviT2_lT3_lT_lT4_lSB_li
; %bb.0:
	s_load_b32 s16, s[0:1], 0x58
	s_bfe_u32 s2, ttmp6, 0x40014
	s_lshr_b32 s3, ttmp7, 16
	s_add_co_i32 s2, s2, 1
	s_bfe_u32 s4, ttmp6, 0x40008
	s_mul_i32 s2, s3, s2
	s_getreg_b32 s8, hwreg(HW_REG_IB_STS2, 6, 4)
	s_add_co_i32 s4, s4, s2
	s_cmp_eq_u32 s8, 0
	s_cselect_b32 s2, s3, s4
	s_mov_b32 s3, 0
	s_wait_kmcnt 0x0
	s_cmp_ge_u32 s2, s16
	s_cbranch_scc1 .LBB118_5
; %bb.1:
	s_clause 0x2
	s_load_b32 s18, s[0:1], 0x0
	s_load_b128 s[12:15], s[0:1], 0x20
	s_load_b128 s[20:23], s[0:1], 0x40
	s_bfe_u32 s4, ttmp6, 0x4000c
	s_and_b32 s9, ttmp6, 15
	s_add_co_i32 s4, s4, 1
	v_mov_b32_e32 v5, 0
	s_mul_i32 s10, ttmp9, s4
	s_load_b128 s[4:7], s[0:1], 0x8
	s_add_co_i32 s9, s9, s10
	s_wait_kmcnt 0x0
	s_ashr_i32 s19, s18, 31
	s_cmp_eq_u32 s8, 0
	s_cselect_b32 s8, ttmp9, s9
	s_lshl_b64 s[12:13], s[12:13], 4
	v_lshl_or_b32 v4, s8, 8, v0
	s_clause 0x1
	s_load_b64 s[8:9], s[0:1], 0x18
	s_load_b64 s[10:11], s[0:1], 0x38
	s_delay_alu instid0(VALU_DEP_1)
	v_mul_u64_e32 v[6:7], s[14:15], v[4:5]
	v_mul_u64_e32 v[8:9], s[22:23], v[4:5]
	s_lshl_b64 s[14:15], s[20:21], 4
	v_cmp_gt_i64_e32 vcc_lo, s[18:19], v[4:5]
	s_branch .LBB118_3
.LBB118_2:                              ;   in Loop: Header=BB118_3 Depth=1
	s_wait_xcnt 0x0
	s_or_b32 exec_lo, exec_lo, s0
	s_add_co_i32 s2, s2, 0x10000
	s_delay_alu instid0(SALU_CYCLE_1)
	s_cmp_lt_u32 s2, s16
	s_cbranch_scc0 .LBB118_5
.LBB118_3:                              ; =>This Inner Loop Header: Depth=1
	s_wait_xcnt 0x0
	s_mul_u64 s[0:1], s[6:7], s[2:3]
	s_delay_alu instid0(SALU_CYCLE_1) | instskip(NEXT) | instid1(SALU_CYCLE_1)
	s_lshl_b64 s[0:1], s[0:1], 4
	s_add_nc_u64 s[0:1], s[4:5], s[0:1]
	global_load_b128 v[0:3], v5, s[0:1]
	s_wait_loadcnt 0x0
	s_wait_xcnt 0x0
	v_cmp_neq_f64_e64 s0, 0, v[0:1]
	v_cmp_neq_f64_e64 s1, 0, v[2:3]
	s_or_b32 s0, s0, s1
	s_delay_alu instid0(SALU_CYCLE_1) | instskip(NEXT) | instid1(SALU_CYCLE_1)
	s_and_b32 s1, vcc_lo, s0
	s_and_saveexec_b32 s0, s1
	s_cbranch_execz .LBB118_2
; %bb.4:                                ;   in Loop: Header=BB118_3 Depth=1
	s_lshl_b64 s[18:19], s[2:3], 3
	s_wait_kmcnt 0x0
	s_add_nc_u64 s[20:21], s[8:9], s[18:19]
	s_add_nc_u64 s[18:19], s[10:11], s[18:19]
	s_load_b64 s[20:21], s[20:21], 0x0
	s_wait_kmcnt 0x0
	s_wait_xcnt 0x0
	s_add_nc_u64 s[20:21], s[20:21], s[12:13]
	s_load_b64 s[18:19], s[18:19], 0x0
	v_lshl_add_u64 v[10:11], v[6:7], 4, s[20:21]
	flat_load_b128 v[10:13], v[10:11]
	s_wait_kmcnt 0x0
	s_add_nc_u64 s[18:19], s[18:19], s[14:15]
	s_delay_alu instid0(SALU_CYCLE_1) | instskip(SKIP_4) | instid1(VALU_DEP_2)
	v_lshl_add_u64 v[18:19], v[8:9], 4, s[18:19]
	flat_load_b128 v[14:17], v[18:19]
	s_wait_loadcnt_dscnt 0x101
	v_mul_f64_e32 v[20:21], v[2:3], v[12:13]
	v_mul_f64_e32 v[12:13], v[0:1], v[12:13]
	v_fma_f64 v[0:1], v[0:1], v[10:11], -v[20:21]
	s_delay_alu instid0(VALU_DEP_2) | instskip(SKIP_1) | instid1(VALU_DEP_2)
	v_fmac_f64_e32 v[12:13], v[2:3], v[10:11]
	s_wait_loadcnt_dscnt 0x0
	v_add_f64_e32 v[0:1], v[14:15], v[0:1]
	s_delay_alu instid0(VALU_DEP_2)
	v_add_f64_e32 v[2:3], v[12:13], v[16:17]
	flat_store_b128 v[18:19], v[0:3]
	s_branch .LBB118_2
.LBB118_5:
	s_endpgm
	.section	.rodata,"a",@progbits
	.p2align	6, 0x0
	.amdhsa_kernel _ZL19rocblas_axpy_kernelIlLi256E19rocblas_complex_numIdEPKS1_PKS3_PKPS1_EviT2_lT3_lT_lT4_lSB_li
		.amdhsa_group_segment_fixed_size 0
		.amdhsa_private_segment_fixed_size 0
		.amdhsa_kernarg_size 92
		.amdhsa_user_sgpr_count 2
		.amdhsa_user_sgpr_dispatch_ptr 0
		.amdhsa_user_sgpr_queue_ptr 0
		.amdhsa_user_sgpr_kernarg_segment_ptr 1
		.amdhsa_user_sgpr_dispatch_id 0
		.amdhsa_user_sgpr_kernarg_preload_length 0
		.amdhsa_user_sgpr_kernarg_preload_offset 0
		.amdhsa_user_sgpr_private_segment_size 0
		.amdhsa_wavefront_size32 1
		.amdhsa_uses_dynamic_stack 0
		.amdhsa_enable_private_segment 0
		.amdhsa_system_sgpr_workgroup_id_x 1
		.amdhsa_system_sgpr_workgroup_id_y 0
		.amdhsa_system_sgpr_workgroup_id_z 1
		.amdhsa_system_sgpr_workgroup_info 0
		.amdhsa_system_vgpr_workitem_id 0
		.amdhsa_next_free_vgpr 22
		.amdhsa_next_free_sgpr 24
		.amdhsa_named_barrier_count 0
		.amdhsa_reserve_vcc 1
		.amdhsa_float_round_mode_32 0
		.amdhsa_float_round_mode_16_64 0
		.amdhsa_float_denorm_mode_32 3
		.amdhsa_float_denorm_mode_16_64 3
		.amdhsa_fp16_overflow 0
		.amdhsa_memory_ordered 1
		.amdhsa_forward_progress 1
		.amdhsa_inst_pref_size 4
		.amdhsa_round_robin_scheduling 0
		.amdhsa_exception_fp_ieee_invalid_op 0
		.amdhsa_exception_fp_denorm_src 0
		.amdhsa_exception_fp_ieee_div_zero 0
		.amdhsa_exception_fp_ieee_overflow 0
		.amdhsa_exception_fp_ieee_underflow 0
		.amdhsa_exception_fp_ieee_inexact 0
		.amdhsa_exception_int_div_zero 0
	.end_amdhsa_kernel
	.section	.text._ZL19rocblas_axpy_kernelIlLi256E19rocblas_complex_numIdEPKS1_PKS3_PKPS1_EviT2_lT3_lT_lT4_lSB_li,"axG",@progbits,_ZL19rocblas_axpy_kernelIlLi256E19rocblas_complex_numIdEPKS1_PKS3_PKPS1_EviT2_lT3_lT_lT4_lSB_li,comdat
.Lfunc_end118:
	.size	_ZL19rocblas_axpy_kernelIlLi256E19rocblas_complex_numIdEPKS1_PKS3_PKPS1_EviT2_lT3_lT_lT4_lSB_li, .Lfunc_end118-_ZL19rocblas_axpy_kernelIlLi256E19rocblas_complex_numIdEPKS1_PKS3_PKPS1_EviT2_lT3_lT_lT4_lSB_li
                                        ; -- End function
	.set _ZL19rocblas_axpy_kernelIlLi256E19rocblas_complex_numIdEPKS1_PKS3_PKPS1_EviT2_lT3_lT_lT4_lSB_li.num_vgpr, 22
	.set _ZL19rocblas_axpy_kernelIlLi256E19rocblas_complex_numIdEPKS1_PKS3_PKPS1_EviT2_lT3_lT_lT4_lSB_li.num_agpr, 0
	.set _ZL19rocblas_axpy_kernelIlLi256E19rocblas_complex_numIdEPKS1_PKS3_PKPS1_EviT2_lT3_lT_lT4_lSB_li.numbered_sgpr, 24
	.set _ZL19rocblas_axpy_kernelIlLi256E19rocblas_complex_numIdEPKS1_PKS3_PKPS1_EviT2_lT3_lT_lT4_lSB_li.num_named_barrier, 0
	.set _ZL19rocblas_axpy_kernelIlLi256E19rocblas_complex_numIdEPKS1_PKS3_PKPS1_EviT2_lT3_lT_lT4_lSB_li.private_seg_size, 0
	.set _ZL19rocblas_axpy_kernelIlLi256E19rocblas_complex_numIdEPKS1_PKS3_PKPS1_EviT2_lT3_lT_lT4_lSB_li.uses_vcc, 1
	.set _ZL19rocblas_axpy_kernelIlLi256E19rocblas_complex_numIdEPKS1_PKS3_PKPS1_EviT2_lT3_lT_lT4_lSB_li.uses_flat_scratch, 0
	.set _ZL19rocblas_axpy_kernelIlLi256E19rocblas_complex_numIdEPKS1_PKS3_PKPS1_EviT2_lT3_lT_lT4_lSB_li.has_dyn_sized_stack, 0
	.set _ZL19rocblas_axpy_kernelIlLi256E19rocblas_complex_numIdEPKS1_PKS3_PKPS1_EviT2_lT3_lT_lT4_lSB_li.has_recursion, 0
	.set _ZL19rocblas_axpy_kernelIlLi256E19rocblas_complex_numIdEPKS1_PKS3_PKPS1_EviT2_lT3_lT_lT4_lSB_li.has_indirect_call, 0
	.section	.AMDGPU.csdata,"",@progbits
; Kernel info:
; codeLenInByte = 468
; TotalNumSgprs: 26
; NumVgprs: 22
; ScratchSize: 0
; MemoryBound: 0
; FloatMode: 240
; IeeeMode: 1
; LDSByteSize: 0 bytes/workgroup (compile time only)
; SGPRBlocks: 0
; VGPRBlocks: 1
; NumSGPRsForWavesPerEU: 26
; NumVGPRsForWavesPerEU: 22
; NamedBarCnt: 0
; Occupancy: 16
; WaveLimiterHint : 1
; COMPUTE_PGM_RSRC2:SCRATCH_EN: 0
; COMPUTE_PGM_RSRC2:USER_SGPR: 2
; COMPUTE_PGM_RSRC2:TRAP_HANDLER: 0
; COMPUTE_PGM_RSRC2:TGID_X_EN: 1
; COMPUTE_PGM_RSRC2:TGID_Y_EN: 0
; COMPUTE_PGM_RSRC2:TGID_Z_EN: 1
; COMPUTE_PGM_RSRC2:TIDIG_COMP_CNT: 0
	.section	.text._ZL19rocblas_axpy_kernelIlLi256E19rocblas_complex_numIdES1_PKPKS1_PKPS1_EviT2_lT3_lT_lT4_lSB_li,"axG",@progbits,_ZL19rocblas_axpy_kernelIlLi256E19rocblas_complex_numIdES1_PKPKS1_PKPS1_EviT2_lT3_lT_lT4_lSB_li,comdat
	.globl	_ZL19rocblas_axpy_kernelIlLi256E19rocblas_complex_numIdES1_PKPKS1_PKPS1_EviT2_lT3_lT_lT4_lSB_li ; -- Begin function _ZL19rocblas_axpy_kernelIlLi256E19rocblas_complex_numIdES1_PKPKS1_PKPS1_EviT2_lT3_lT_lT4_lSB_li
	.p2align	8
	.type	_ZL19rocblas_axpy_kernelIlLi256E19rocblas_complex_numIdES1_PKPKS1_PKPS1_EviT2_lT3_lT_lT4_lSB_li,@function
_ZL19rocblas_axpy_kernelIlLi256E19rocblas_complex_numIdES1_PKPKS1_PKPS1_EviT2_lT3_lT_lT4_lSB_li: ; @_ZL19rocblas_axpy_kernelIlLi256E19rocblas_complex_numIdES1_PKPKS1_PKPS1_EviT2_lT3_lT_lT4_lSB_li
; %bb.0:
	s_load_b32 s12, s[0:1], 0x60
	s_bfe_u32 s2, ttmp6, 0x40014
	s_lshr_b32 s3, ttmp7, 16
	s_add_co_i32 s2, s2, 1
	s_bfe_u32 s5, ttmp6, 0x40008
	s_mul_i32 s4, s3, s2
	s_getreg_b32 s2, hwreg(HW_REG_IB_STS2, 6, 4)
	s_add_co_i32 s5, s5, s4
	s_cmp_eq_u32 s2, 0
	s_cselect_b32 s13, s3, s5
	s_wait_kmcnt 0x0
	s_cmp_ge_u32 s13, s12
	s_cbranch_scc1 .LBB119_5
; %bb.1:
	s_clause 0x3
	s_load_b32 s10, s[0:1], 0x0
	s_load_b128 s[4:7], s[0:1], 0x8
	s_load_b128 s[16:19], s[0:1], 0x28
	;; [unrolled: 1-line block ×3, first 2 shown]
	s_bfe_u32 s3, ttmp6, 0x4000c
	s_and_b32 s8, ttmp6, 15
	s_add_co_i32 s3, s3, 1
	v_mov_b32_e32 v5, 0
	s_mul_i32 s3, ttmp9, s3
	s_delay_alu instid0(SALU_CYCLE_1)
	s_add_co_i32 s8, s8, s3
	s_wait_kmcnt 0x0
	s_ashr_i32 s11, s10, 31
	s_cmp_eq_u32 s2, 0
	v_cmp_neq_f64_e64 s14, s[4:5], 0
	s_cselect_b32 s2, ttmp9, s8
	v_cmp_neq_f64_e64 s15, s[6:7], 0
	v_lshl_or_b32 v4, s2, 8, v0
	s_clause 0x1
	s_load_b64 s[2:3], s[0:1], 0x20
	s_load_b64 s[8:9], s[0:1], 0x40
	s_delay_alu instid0(VALU_DEP_1)
	v_mul_u64_e32 v[0:1], s[18:19], v[4:5]
	v_mul_u64_e32 v[2:3], s[22:23], v[4:5]
	v_cmp_gt_i64_e32 vcc_lo, s[10:11], v[4:5]
	s_lshl_b64 s[10:11], s[20:21], 4
	s_wait_xcnt 0x0
	s_or_b32 s0, s14, s15
	s_delay_alu instid0(SALU_CYCLE_1)
	s_and_b32 s14, vcc_lo, s0
	s_lshl_b64 s[0:1], s[16:17], 4
	s_branch .LBB119_3
.LBB119_2:                              ;   in Loop: Header=BB119_3 Depth=1
	s_wait_xcnt 0x0
	s_or_b32 exec_lo, exec_lo, s15
	s_add_co_i32 s13, s13, 0x10000
	s_delay_alu instid0(SALU_CYCLE_1)
	s_cmp_lt_u32 s13, s12
	s_cbranch_scc0 .LBB119_5
.LBB119_3:                              ; =>This Inner Loop Header: Depth=1
	s_and_saveexec_b32 s15, s14
	s_cbranch_execz .LBB119_2
; %bb.4:                                ;   in Loop: Header=BB119_3 Depth=1
	s_wait_kmcnt 0x0
	s_load_b64 s[16:17], s[2:3], s13 offset:0x0 scale_offset
	s_wait_kmcnt 0x0
	s_add_nc_u64 s[16:17], s[16:17], s[0:1]
	s_delay_alu instid0(VALU_DEP_3) | instid1(SALU_CYCLE_1)
	v_lshl_add_u64 v[4:5], v[0:1], 4, s[16:17]
	s_load_b64 s[16:17], s[8:9], s13 offset:0x0 scale_offset
	flat_load_b128 v[4:7], v[4:5]
	s_wait_kmcnt 0x0
	s_add_nc_u64 s[16:17], s[16:17], s[10:11]
	s_delay_alu instid0(SALU_CYCLE_1) | instskip(SKIP_4) | instid1(VALU_DEP_2)
	v_lshl_add_u64 v[12:13], v[2:3], 4, s[16:17]
	flat_load_b128 v[8:11], v[12:13]
	s_wait_loadcnt_dscnt 0x101
	v_mul_f64_e32 v[14:15], s[6:7], v[6:7]
	v_mul_f64_e32 v[6:7], s[4:5], v[6:7]
	v_fma_f64 v[14:15], s[4:5], v[4:5], -v[14:15]
	s_delay_alu instid0(VALU_DEP_2) | instskip(SKIP_2) | instid1(VALU_DEP_2)
	v_fmac_f64_e32 v[6:7], s[6:7], v[4:5]
	s_wait_loadcnt_dscnt 0x0
	s_wait_xcnt 0x1
	v_add_f64_e32 v[4:5], v[8:9], v[14:15]
	s_delay_alu instid0(VALU_DEP_2)
	v_add_f64_e32 v[6:7], v[6:7], v[10:11]
	flat_store_b128 v[12:13], v[4:7]
	s_branch .LBB119_2
.LBB119_5:
	s_endpgm
	.section	.rodata,"a",@progbits
	.p2align	6, 0x0
	.amdhsa_kernel _ZL19rocblas_axpy_kernelIlLi256E19rocblas_complex_numIdES1_PKPKS1_PKPS1_EviT2_lT3_lT_lT4_lSB_li
		.amdhsa_group_segment_fixed_size 0
		.amdhsa_private_segment_fixed_size 0
		.amdhsa_kernarg_size 100
		.amdhsa_user_sgpr_count 2
		.amdhsa_user_sgpr_dispatch_ptr 0
		.amdhsa_user_sgpr_queue_ptr 0
		.amdhsa_user_sgpr_kernarg_segment_ptr 1
		.amdhsa_user_sgpr_dispatch_id 0
		.amdhsa_user_sgpr_kernarg_preload_length 0
		.amdhsa_user_sgpr_kernarg_preload_offset 0
		.amdhsa_user_sgpr_private_segment_size 0
		.amdhsa_wavefront_size32 1
		.amdhsa_uses_dynamic_stack 0
		.amdhsa_enable_private_segment 0
		.amdhsa_system_sgpr_workgroup_id_x 1
		.amdhsa_system_sgpr_workgroup_id_y 0
		.amdhsa_system_sgpr_workgroup_id_z 1
		.amdhsa_system_sgpr_workgroup_info 0
		.amdhsa_system_vgpr_workitem_id 0
		.amdhsa_next_free_vgpr 16
		.amdhsa_next_free_sgpr 24
		.amdhsa_named_barrier_count 0
		.amdhsa_reserve_vcc 1
		.amdhsa_float_round_mode_32 0
		.amdhsa_float_round_mode_16_64 0
		.amdhsa_float_denorm_mode_32 3
		.amdhsa_float_denorm_mode_16_64 3
		.amdhsa_fp16_overflow 0
		.amdhsa_memory_ordered 1
		.amdhsa_forward_progress 1
		.amdhsa_inst_pref_size 4
		.amdhsa_round_robin_scheduling 0
		.amdhsa_exception_fp_ieee_invalid_op 0
		.amdhsa_exception_fp_denorm_src 0
		.amdhsa_exception_fp_ieee_div_zero 0
		.amdhsa_exception_fp_ieee_overflow 0
		.amdhsa_exception_fp_ieee_underflow 0
		.amdhsa_exception_fp_ieee_inexact 0
		.amdhsa_exception_int_div_zero 0
	.end_amdhsa_kernel
	.section	.text._ZL19rocblas_axpy_kernelIlLi256E19rocblas_complex_numIdES1_PKPKS1_PKPS1_EviT2_lT3_lT_lT4_lSB_li,"axG",@progbits,_ZL19rocblas_axpy_kernelIlLi256E19rocblas_complex_numIdES1_PKPKS1_PKPS1_EviT2_lT3_lT_lT4_lSB_li,comdat
.Lfunc_end119:
	.size	_ZL19rocblas_axpy_kernelIlLi256E19rocblas_complex_numIdES1_PKPKS1_PKPS1_EviT2_lT3_lT_lT4_lSB_li, .Lfunc_end119-_ZL19rocblas_axpy_kernelIlLi256E19rocblas_complex_numIdES1_PKPKS1_PKPS1_EviT2_lT3_lT_lT4_lSB_li
                                        ; -- End function
	.set _ZL19rocblas_axpy_kernelIlLi256E19rocblas_complex_numIdES1_PKPKS1_PKPS1_EviT2_lT3_lT_lT4_lSB_li.num_vgpr, 16
	.set _ZL19rocblas_axpy_kernelIlLi256E19rocblas_complex_numIdES1_PKPKS1_PKPS1_EviT2_lT3_lT_lT4_lSB_li.num_agpr, 0
	.set _ZL19rocblas_axpy_kernelIlLi256E19rocblas_complex_numIdES1_PKPKS1_PKPS1_EviT2_lT3_lT_lT4_lSB_li.numbered_sgpr, 24
	.set _ZL19rocblas_axpy_kernelIlLi256E19rocblas_complex_numIdES1_PKPKS1_PKPS1_EviT2_lT3_lT_lT4_lSB_li.num_named_barrier, 0
	.set _ZL19rocblas_axpy_kernelIlLi256E19rocblas_complex_numIdES1_PKPKS1_PKPS1_EviT2_lT3_lT_lT4_lSB_li.private_seg_size, 0
	.set _ZL19rocblas_axpy_kernelIlLi256E19rocblas_complex_numIdES1_PKPKS1_PKPS1_EviT2_lT3_lT_lT4_lSB_li.uses_vcc, 1
	.set _ZL19rocblas_axpy_kernelIlLi256E19rocblas_complex_numIdES1_PKPKS1_PKPS1_EviT2_lT3_lT_lT4_lSB_li.uses_flat_scratch, 0
	.set _ZL19rocblas_axpy_kernelIlLi256E19rocblas_complex_numIdES1_PKPKS1_PKPS1_EviT2_lT3_lT_lT4_lSB_li.has_dyn_sized_stack, 0
	.set _ZL19rocblas_axpy_kernelIlLi256E19rocblas_complex_numIdES1_PKPKS1_PKPS1_EviT2_lT3_lT_lT4_lSB_li.has_recursion, 0
	.set _ZL19rocblas_axpy_kernelIlLi256E19rocblas_complex_numIdES1_PKPKS1_PKPS1_EviT2_lT3_lT_lT4_lSB_li.has_indirect_call, 0
	.section	.AMDGPU.csdata,"",@progbits
; Kernel info:
; codeLenInByte = 424
; TotalNumSgprs: 26
; NumVgprs: 16
; ScratchSize: 0
; MemoryBound: 0
; FloatMode: 240
; IeeeMode: 1
; LDSByteSize: 0 bytes/workgroup (compile time only)
; SGPRBlocks: 0
; VGPRBlocks: 0
; NumSGPRsForWavesPerEU: 26
; NumVGPRsForWavesPerEU: 16
; NamedBarCnt: 0
; Occupancy: 16
; WaveLimiterHint : 1
; COMPUTE_PGM_RSRC2:SCRATCH_EN: 0
; COMPUTE_PGM_RSRC2:USER_SGPR: 2
; COMPUTE_PGM_RSRC2:TRAP_HANDLER: 0
; COMPUTE_PGM_RSRC2:TGID_X_EN: 1
; COMPUTE_PGM_RSRC2:TGID_Y_EN: 0
; COMPUTE_PGM_RSRC2:TGID_Z_EN: 1
; COMPUTE_PGM_RSRC2:TIDIG_COMP_CNT: 0
	.section	.text._ZL26rocblas_haxpy_mlt_8_kernelILi256EPKDF16_PK16rocblas_bfloat16PS2_EviT0_lT1_llT2_lli,"axG",@progbits,_ZL26rocblas_haxpy_mlt_8_kernelILi256EPKDF16_PK16rocblas_bfloat16PS2_EviT0_lT1_llT2_lli,comdat
	.globl	_ZL26rocblas_haxpy_mlt_8_kernelILi256EPKDF16_PK16rocblas_bfloat16PS2_EviT0_lT1_llT2_lli ; -- Begin function _ZL26rocblas_haxpy_mlt_8_kernelILi256EPKDF16_PK16rocblas_bfloat16PS2_EviT0_lT1_llT2_lli
	.p2align	8
	.type	_ZL26rocblas_haxpy_mlt_8_kernelILi256EPKDF16_PK16rocblas_bfloat16PS2_EviT0_lT1_llT2_lli,@function
_ZL26rocblas_haxpy_mlt_8_kernelILi256EPKDF16_PK16rocblas_bfloat16PS2_EviT0_lT1_llT2_lli: ; @_ZL26rocblas_haxpy_mlt_8_kernelILi256EPKDF16_PK16rocblas_bfloat16PS2_EviT0_lT1_llT2_lli
; %bb.0:
	s_load_b32 s20, s[0:1], 0x48
	s_bfe_u32 s2, ttmp6, 0x40014
	s_lshr_b32 s3, ttmp7, 16
	s_add_co_i32 s2, s2, 1
	s_bfe_u32 s4, ttmp6, 0x40008
	s_mul_i32 s2, s3, s2
	s_getreg_b32 s21, hwreg(HW_REG_IB_STS2, 6, 4)
	s_add_co_i32 s4, s4, s2
	s_cmp_eq_u32 s21, 0
	s_cselect_b32 s2, s3, s4
	s_mov_b32 s3, 0
	s_wait_kmcnt 0x0
	s_cmp_ge_u32 s2, s20
	s_cbranch_scc1 .LBB120_5
; %bb.1:
	s_clause 0x1
	s_load_b32 s22, s[0:1], 0x0
	s_load_b512 s[4:19], s[0:1], 0x8
	s_wait_xcnt 0x0
	s_bfe_u32 s0, ttmp6, 0x4000c
	s_and_b32 s1, ttmp6, 15
	s_add_co_i32 s0, s0, 1
	v_mov_b32_e32 v1, 0
	s_mul_i32 s0, ttmp9, s0
	s_delay_alu instid0(SALU_CYCLE_1)
	s_add_co_i32 s24, s1, s0
	s_wait_kmcnt 0x0
	s_ashr_i32 s23, s22, 31
	s_lshl_b64 s[0:1], s[16:17], 1
	s_lshl_b64 s[10:11], s[10:11], 1
	s_cmp_eq_u32 s21, 0
	s_add_nc_u64 s[0:1], s[14:15], s[0:1]
	s_cselect_b32 s16, ttmp9, s24
	s_add_nc_u64 s[8:9], s[8:9], s[10:11]
	v_lshl_or_b32 v0, s16, 8, v0
	s_delay_alu instid0(VALU_DEP_1) | instskip(SKIP_1) | instid1(VALU_DEP_2)
	v_lshlrev_b64_e32 v[2:3], 3, v[0:1]
	v_lshlrev_b64_e32 v[4:5], 4, v[0:1]
	v_cmp_le_i64_e32 vcc_lo, s[22:23], v[2:3]
	s_delay_alu instid0(VALU_DEP_2)
	v_add_nc_u64_e32 v[2:3], s[8:9], v[4:5]
	v_add_nc_u64_e32 v[4:5], s[0:1], v[4:5]
	s_xor_b32 s0, vcc_lo, -1
	s_branch .LBB120_3
.LBB120_2:                              ;   in Loop: Header=BB120_3 Depth=1
	s_wait_xcnt 0x0
	s_or_b32 exec_lo, exec_lo, s1
	s_add_co_i32 s2, s2, 0x10000
	s_delay_alu instid0(SALU_CYCLE_1)
	s_cmp_lt_u32 s2, s20
	s_cbranch_scc0 .LBB120_5
.LBB120_3:                              ; =>This Inner Loop Header: Depth=1
	s_mul_u64 s[8:9], s[6:7], s[2:3]
	s_delay_alu instid0(SALU_CYCLE_1) | instskip(NEXT) | instid1(SALU_CYCLE_1)
	s_lshl_b64 s[8:9], s[8:9], 1
	s_add_nc_u64 s[8:9], s[4:5], s[8:9]
	global_load_u16 v0, v1, s[8:9]
	s_wait_loadcnt 0x0
	v_readfirstlane_b32 s1, v0
	s_pack_ll_b32_b16 s1, s1, s1
	s_delay_alu instid0(SALU_CYCLE_1) | instskip(NEXT) | instid1(SALU_CYCLE_1)
	s_and_b32 s1, s1, 0x7fff
	s_cmp_lg_u32 s1, 0
	s_cselect_b32 s1, -1, 0
	s_wait_xcnt 0x0
	s_and_b32 s8, s1, s0
	s_delay_alu instid0(SALU_CYCLE_1)
	s_and_saveexec_b32 s1, s8
	s_cbranch_execz .LBB120_2
; %bb.4:                                ;   in Loop: Header=BB120_3 Depth=1
	s_mul_u64 s[8:9], s[18:19], s[2:3]
	s_mul_u64 s[10:11], s[12:13], s[2:3]
	v_lshl_add_u64 v[14:15], s[8:9], 1, v[4:5]
	v_lshl_add_u64 v[16:17], s[10:11], 1, v[2:3]
	global_load_b128 v[6:9], v[14:15], off
	global_load_b128 v[10:13], v[16:17], off
	s_wait_loadcnt 0x0
	v_pk_fma_f16 v9, v0, v13, v9 op_sel_hi:[0,1,1]
	v_pk_fma_f16 v8, v0, v12, v8 op_sel_hi:[0,1,1]
	;; [unrolled: 1-line block ×4, first 2 shown]
	global_store_b128 v[14:15], v[6:9], off
	s_branch .LBB120_2
.LBB120_5:
	s_endpgm
	.section	.rodata,"a",@progbits
	.p2align	6, 0x0
	.amdhsa_kernel _ZL26rocblas_haxpy_mlt_8_kernelILi256EPKDF16_PK16rocblas_bfloat16PS2_EviT0_lT1_llT2_lli
		.amdhsa_group_segment_fixed_size 0
		.amdhsa_private_segment_fixed_size 0
		.amdhsa_kernarg_size 76
		.amdhsa_user_sgpr_count 2
		.amdhsa_user_sgpr_dispatch_ptr 0
		.amdhsa_user_sgpr_queue_ptr 0
		.amdhsa_user_sgpr_kernarg_segment_ptr 1
		.amdhsa_user_sgpr_dispatch_id 0
		.amdhsa_user_sgpr_kernarg_preload_length 0
		.amdhsa_user_sgpr_kernarg_preload_offset 0
		.amdhsa_user_sgpr_private_segment_size 0
		.amdhsa_wavefront_size32 1
		.amdhsa_uses_dynamic_stack 0
		.amdhsa_enable_private_segment 0
		.amdhsa_system_sgpr_workgroup_id_x 1
		.amdhsa_system_sgpr_workgroup_id_y 0
		.amdhsa_system_sgpr_workgroup_id_z 1
		.amdhsa_system_sgpr_workgroup_info 0
		.amdhsa_system_vgpr_workitem_id 0
		.amdhsa_next_free_vgpr 18
		.amdhsa_next_free_sgpr 25
		.amdhsa_named_barrier_count 0
		.amdhsa_reserve_vcc 1
		.amdhsa_float_round_mode_32 0
		.amdhsa_float_round_mode_16_64 0
		.amdhsa_float_denorm_mode_32 3
		.amdhsa_float_denorm_mode_16_64 3
		.amdhsa_fp16_overflow 0
		.amdhsa_memory_ordered 1
		.amdhsa_forward_progress 1
		.amdhsa_inst_pref_size 4
		.amdhsa_round_robin_scheduling 0
		.amdhsa_exception_fp_ieee_invalid_op 0
		.amdhsa_exception_fp_denorm_src 0
		.amdhsa_exception_fp_ieee_div_zero 0
		.amdhsa_exception_fp_ieee_overflow 0
		.amdhsa_exception_fp_ieee_underflow 0
		.amdhsa_exception_fp_ieee_inexact 0
		.amdhsa_exception_int_div_zero 0
	.end_amdhsa_kernel
	.section	.text._ZL26rocblas_haxpy_mlt_8_kernelILi256EPKDF16_PK16rocblas_bfloat16PS2_EviT0_lT1_llT2_lli,"axG",@progbits,_ZL26rocblas_haxpy_mlt_8_kernelILi256EPKDF16_PK16rocblas_bfloat16PS2_EviT0_lT1_llT2_lli,comdat
.Lfunc_end120:
	.size	_ZL26rocblas_haxpy_mlt_8_kernelILi256EPKDF16_PK16rocblas_bfloat16PS2_EviT0_lT1_llT2_lli, .Lfunc_end120-_ZL26rocblas_haxpy_mlt_8_kernelILi256EPKDF16_PK16rocblas_bfloat16PS2_EviT0_lT1_llT2_lli
                                        ; -- End function
	.set _ZL26rocblas_haxpy_mlt_8_kernelILi256EPKDF16_PK16rocblas_bfloat16PS2_EviT0_lT1_llT2_lli.num_vgpr, 18
	.set _ZL26rocblas_haxpy_mlt_8_kernelILi256EPKDF16_PK16rocblas_bfloat16PS2_EviT0_lT1_llT2_lli.num_agpr, 0
	.set _ZL26rocblas_haxpy_mlt_8_kernelILi256EPKDF16_PK16rocblas_bfloat16PS2_EviT0_lT1_llT2_lli.numbered_sgpr, 25
	.set _ZL26rocblas_haxpy_mlt_8_kernelILi256EPKDF16_PK16rocblas_bfloat16PS2_EviT0_lT1_llT2_lli.num_named_barrier, 0
	.set _ZL26rocblas_haxpy_mlt_8_kernelILi256EPKDF16_PK16rocblas_bfloat16PS2_EviT0_lT1_llT2_lli.private_seg_size, 0
	.set _ZL26rocblas_haxpy_mlt_8_kernelILi256EPKDF16_PK16rocblas_bfloat16PS2_EviT0_lT1_llT2_lli.uses_vcc, 1
	.set _ZL26rocblas_haxpy_mlt_8_kernelILi256EPKDF16_PK16rocblas_bfloat16PS2_EviT0_lT1_llT2_lli.uses_flat_scratch, 0
	.set _ZL26rocblas_haxpy_mlt_8_kernelILi256EPKDF16_PK16rocblas_bfloat16PS2_EviT0_lT1_llT2_lli.has_dyn_sized_stack, 0
	.set _ZL26rocblas_haxpy_mlt_8_kernelILi256EPKDF16_PK16rocblas_bfloat16PS2_EviT0_lT1_llT2_lli.has_recursion, 0
	.set _ZL26rocblas_haxpy_mlt_8_kernelILi256EPKDF16_PK16rocblas_bfloat16PS2_EviT0_lT1_llT2_lli.has_indirect_call, 0
	.section	.AMDGPU.csdata,"",@progbits
; Kernel info:
; codeLenInByte = 412
; TotalNumSgprs: 27
; NumVgprs: 18
; ScratchSize: 0
; MemoryBound: 1
; FloatMode: 240
; IeeeMode: 1
; LDSByteSize: 0 bytes/workgroup (compile time only)
; SGPRBlocks: 0
; VGPRBlocks: 1
; NumSGPRsForWavesPerEU: 27
; NumVGPRsForWavesPerEU: 18
; NamedBarCnt: 0
; Occupancy: 16
; WaveLimiterHint : 0
; COMPUTE_PGM_RSRC2:SCRATCH_EN: 0
; COMPUTE_PGM_RSRC2:USER_SGPR: 2
; COMPUTE_PGM_RSRC2:TRAP_HANDLER: 0
; COMPUTE_PGM_RSRC2:TGID_X_EN: 1
; COMPUTE_PGM_RSRC2:TGID_Y_EN: 0
; COMPUTE_PGM_RSRC2:TGID_Z_EN: 1
; COMPUTE_PGM_RSRC2:TIDIG_COMP_CNT: 0
	.section	.text._ZL26rocblas_haxpy_mod_8_kernelILi256EPK16rocblas_bfloat16S2_PS0_EviT0_lT1_llT2_lli,"axG",@progbits,_ZL26rocblas_haxpy_mod_8_kernelILi256EPK16rocblas_bfloat16S2_PS0_EviT0_lT1_llT2_lli,comdat
	.globl	_ZL26rocblas_haxpy_mod_8_kernelILi256EPK16rocblas_bfloat16S2_PS0_EviT0_lT1_llT2_lli ; -- Begin function _ZL26rocblas_haxpy_mod_8_kernelILi256EPK16rocblas_bfloat16S2_PS0_EviT0_lT1_llT2_lli
	.p2align	8
	.type	_ZL26rocblas_haxpy_mod_8_kernelILi256EPK16rocblas_bfloat16S2_PS0_EviT0_lT1_llT2_lli,@function
_ZL26rocblas_haxpy_mod_8_kernelILi256EPK16rocblas_bfloat16S2_PS0_EviT0_lT1_llT2_lli: ; @_ZL26rocblas_haxpy_mod_8_kernelILi256EPK16rocblas_bfloat16S2_PS0_EviT0_lT1_llT2_lli
; %bb.0:
	s_load_b32 s20, s[0:1], 0x48
	s_bfe_u32 s2, ttmp6, 0x40014
	s_lshr_b32 s3, ttmp7, 16
	s_add_co_i32 s2, s2, 1
	s_bfe_u32 s4, ttmp6, 0x40008
	s_mul_i32 s2, s3, s2
	s_getreg_b32 s21, hwreg(HW_REG_IB_STS2, 6, 4)
	s_add_co_i32 s4, s4, s2
	s_cmp_eq_u32 s21, 0
	s_cselect_b32 s2, s3, s4
	s_mov_b32 s3, 0
	s_wait_kmcnt 0x0
	s_cmp_ge_u32 s2, s20
	s_cbranch_scc1 .LBB121_13
; %bb.1:
	s_clause 0x1
	s_load_b32 s22, s[0:1], 0x0
	s_load_b512 s[4:19], s[0:1], 0x8
	s_wait_xcnt 0x0
	s_bfe_u32 s0, ttmp6, 0x4000c
	s_and_b32 s1, ttmp6, 15
	s_add_co_i32 s0, s0, 1
	v_mov_b32_e32 v1, 0
	s_mul_i32 s0, ttmp9, s0
	s_delay_alu instid0(SALU_CYCLE_1) | instskip(SKIP_4) | instid1(SALU_CYCLE_1)
	s_add_co_i32 s1, s1, s0
	s_wait_kmcnt 0x0
	s_ashr_i32 s23, s22, 31
	s_cmp_eq_u32 s21, 0
	s_cselect_b32 s0, ttmp9, s1
	v_lshl_or_b32 v0, s0, 8, v0
	s_lshl_b64 s[0:1], s[10:11], 1
	s_lshl_b64 s[10:11], s[16:17], 1
	s_add_nc_u64 s[0:1], s[8:9], s[0:1]
	s_add_nc_u64 s[8:9], s[14:15], s[10:11]
	v_lshlrev_b64_e32 v[4:5], 1, v[0:1]
	v_cmp_gt_i64_e32 vcc_lo, s[22:23], v[0:1]
	s_delay_alu instid0(VALU_DEP_2)
	v_add_nc_u64_e32 v[2:3], s[0:1], v[4:5]
	v_add_nc_u64_e32 v[4:5], s[8:9], v[4:5]
	s_branch .LBB121_4
.LBB121_2:                              ;   in Loop: Header=BB121_4 Depth=1
	s_or_b32 exec_lo, exec_lo, s8
	global_store_d16_hi_b16 v[6:7], v8, off
.LBB121_3:                              ;   in Loop: Header=BB121_4 Depth=1
	s_wait_xcnt 0x0
	s_or_b32 exec_lo, exec_lo, s1
	s_add_co_i32 s2, s2, 0x10000
	s_delay_alu instid0(SALU_CYCLE_1)
	s_cmp_lt_u32 s2, s20
	s_cbranch_scc0 .LBB121_13
.LBB121_4:                              ; =>This Inner Loop Header: Depth=1
	s_mul_u64 s[0:1], s[6:7], s[2:3]
	s_delay_alu instid0(SALU_CYCLE_1) | instskip(NEXT) | instid1(SALU_CYCLE_1)
	s_lshl_b64 s[0:1], s[0:1], 1
	s_add_nc_u64 s[0:1], s[4:5], s[0:1]
	global_load_u16 v0, v1, s[0:1]
	s_wait_loadcnt 0x0
	s_wait_xcnt 0x0
	v_readfirstlane_b32 s0, v0
	s_and_b32 s0, s0, 0x7fff
	s_delay_alu instid0(SALU_CYCLE_1) | instskip(SKIP_1) | instid1(SALU_CYCLE_1)
	s_cmp_lg_u32 s0, 0
	s_cselect_b32 s0, -1, 0
	s_and_b32 s0, vcc_lo, s0
	s_delay_alu instid0(SALU_CYCLE_1)
	s_and_saveexec_b32 s1, s0
	s_cbranch_execz .LBB121_3
; %bb.5:                                ;   in Loop: Header=BB121_4 Depth=1
	s_mul_u64 s[8:9], s[12:13], s[2:3]
	v_lshlrev_b32_e32 v0, 16, v0
	v_lshl_add_u64 v[6:7], s[8:9], 1, v[2:3]
	global_load_u16 v6, v[6:7], off
	s_wait_loadcnt 0x0
	s_wait_xcnt 0x0
	v_lshlrev_b32_e32 v6, 16, v6
	s_delay_alu instid0(VALU_DEP_1) | instskip(NEXT) | instid1(VALU_DEP_1)
	v_mul_f32_e32 v6, v6, v0
	v_and_b32_e32 v0, 0x7f800000, v6
	s_delay_alu instid0(VALU_DEP_1) | instskip(SKIP_1) | instid1(SALU_CYCLE_1)
	v_cmp_ne_u32_e64 s0, 0x7f800000, v0
                                        ; implicit-def: $vgpr0
	s_and_saveexec_b32 s8, s0
	s_xor_b32 s0, exec_lo, s8
; %bb.6:                                ;   in Loop: Header=BB121_4 Depth=1
	v_bfe_u32 v0, v6, 16, 1
	s_delay_alu instid0(VALU_DEP_1)
	v_add3_u32 v0, v6, v0, 0x7fff
                                        ; implicit-def: $vgpr6
; %bb.7:                                ;   in Loop: Header=BB121_4 Depth=1
	s_and_not1_saveexec_b32 s8, s0
; %bb.8:                                ;   in Loop: Header=BB121_4 Depth=1
	v_and_b32_e32 v0, 0xffff, v6
	v_or_b32_e32 v7, 0x10000, v6
	s_delay_alu instid0(VALU_DEP_2) | instskip(NEXT) | instid1(VALU_DEP_1)
	v_cmp_eq_u32_e64 s0, 0, v0
	v_cndmask_b32_e64 v0, v7, v6, s0
; %bb.9:                                ;   in Loop: Header=BB121_4 Depth=1
	s_or_b32 exec_lo, exec_lo, s8
	s_mul_u64 s[8:9], s[18:19], s[2:3]
	s_delay_alu instid0(VALU_DEP_1) | instskip(SKIP_4) | instid1(VALU_DEP_1)
	v_and_b32_e32 v0, 0xffff0000, v0
	v_lshl_add_u64 v[6:7], s[8:9], 1, v[4:5]
	global_load_u16 v8, v[6:7], off
	s_wait_loadcnt 0x0
	v_lshlrev_b32_e32 v8, 16, v8
	v_add_f32_e32 v0, v0, v8
	s_delay_alu instid0(VALU_DEP_1) | instskip(NEXT) | instid1(VALU_DEP_1)
	v_and_b32_e32 v8, 0x7f800000, v0
	v_cmp_ne_u32_e64 s0, 0x7f800000, v8
                                        ; implicit-def: $vgpr8
	s_wait_xcnt 0x0
	s_and_saveexec_b32 s8, s0
	s_delay_alu instid0(SALU_CYCLE_1)
	s_xor_b32 s0, exec_lo, s8
; %bb.10:                               ;   in Loop: Header=BB121_4 Depth=1
	v_bfe_u32 v8, v0, 16, 1
	s_delay_alu instid0(VALU_DEP_1)
	v_add3_u32 v8, v0, v8, 0x7fff
                                        ; implicit-def: $vgpr0
; %bb.11:                               ;   in Loop: Header=BB121_4 Depth=1
	s_and_not1_saveexec_b32 s8, s0
	s_cbranch_execz .LBB121_2
; %bb.12:                               ;   in Loop: Header=BB121_4 Depth=1
	v_and_b32_e32 v8, 0xffff, v0
	v_or_b32_e32 v9, 0x10000, v0
	s_delay_alu instid0(VALU_DEP_2) | instskip(NEXT) | instid1(VALU_DEP_1)
	v_cmp_eq_u32_e64 s0, 0, v8
	v_cndmask_b32_e64 v8, v9, v0, s0
	s_branch .LBB121_2
.LBB121_13:
	s_endpgm
	.section	.rodata,"a",@progbits
	.p2align	6, 0x0
	.amdhsa_kernel _ZL26rocblas_haxpy_mod_8_kernelILi256EPK16rocblas_bfloat16S2_PS0_EviT0_lT1_llT2_lli
		.amdhsa_group_segment_fixed_size 0
		.amdhsa_private_segment_fixed_size 0
		.amdhsa_kernarg_size 76
		.amdhsa_user_sgpr_count 2
		.amdhsa_user_sgpr_dispatch_ptr 0
		.amdhsa_user_sgpr_queue_ptr 0
		.amdhsa_user_sgpr_kernarg_segment_ptr 1
		.amdhsa_user_sgpr_dispatch_id 0
		.amdhsa_user_sgpr_kernarg_preload_length 0
		.amdhsa_user_sgpr_kernarg_preload_offset 0
		.amdhsa_user_sgpr_private_segment_size 0
		.amdhsa_wavefront_size32 1
		.amdhsa_uses_dynamic_stack 0
		.amdhsa_enable_private_segment 0
		.amdhsa_system_sgpr_workgroup_id_x 1
		.amdhsa_system_sgpr_workgroup_id_y 0
		.amdhsa_system_sgpr_workgroup_id_z 1
		.amdhsa_system_sgpr_workgroup_info 0
		.amdhsa_system_vgpr_workitem_id 0
		.amdhsa_next_free_vgpr 10
		.amdhsa_next_free_sgpr 24
		.amdhsa_named_barrier_count 0
		.amdhsa_reserve_vcc 1
		.amdhsa_float_round_mode_32 0
		.amdhsa_float_round_mode_16_64 0
		.amdhsa_float_denorm_mode_32 3
		.amdhsa_float_denorm_mode_16_64 3
		.amdhsa_fp16_overflow 0
		.amdhsa_memory_ordered 1
		.amdhsa_forward_progress 1
		.amdhsa_inst_pref_size 5
		.amdhsa_round_robin_scheduling 0
		.amdhsa_exception_fp_ieee_invalid_op 0
		.amdhsa_exception_fp_denorm_src 0
		.amdhsa_exception_fp_ieee_div_zero 0
		.amdhsa_exception_fp_ieee_overflow 0
		.amdhsa_exception_fp_ieee_underflow 0
		.amdhsa_exception_fp_ieee_inexact 0
		.amdhsa_exception_int_div_zero 0
	.end_amdhsa_kernel
	.section	.text._ZL26rocblas_haxpy_mod_8_kernelILi256EPK16rocblas_bfloat16S2_PS0_EviT0_lT1_llT2_lli,"axG",@progbits,_ZL26rocblas_haxpy_mod_8_kernelILi256EPK16rocblas_bfloat16S2_PS0_EviT0_lT1_llT2_lli,comdat
.Lfunc_end121:
	.size	_ZL26rocblas_haxpy_mod_8_kernelILi256EPK16rocblas_bfloat16S2_PS0_EviT0_lT1_llT2_lli, .Lfunc_end121-_ZL26rocblas_haxpy_mod_8_kernelILi256EPK16rocblas_bfloat16S2_PS0_EviT0_lT1_llT2_lli
                                        ; -- End function
	.set _ZL26rocblas_haxpy_mod_8_kernelILi256EPK16rocblas_bfloat16S2_PS0_EviT0_lT1_llT2_lli.num_vgpr, 10
	.set _ZL26rocblas_haxpy_mod_8_kernelILi256EPK16rocblas_bfloat16S2_PS0_EviT0_lT1_llT2_lli.num_agpr, 0
	.set _ZL26rocblas_haxpy_mod_8_kernelILi256EPK16rocblas_bfloat16S2_PS0_EviT0_lT1_llT2_lli.numbered_sgpr, 24
	.set _ZL26rocblas_haxpy_mod_8_kernelILi256EPK16rocblas_bfloat16S2_PS0_EviT0_lT1_llT2_lli.num_named_barrier, 0
	.set _ZL26rocblas_haxpy_mod_8_kernelILi256EPK16rocblas_bfloat16S2_PS0_EviT0_lT1_llT2_lli.private_seg_size, 0
	.set _ZL26rocblas_haxpy_mod_8_kernelILi256EPK16rocblas_bfloat16S2_PS0_EviT0_lT1_llT2_lli.uses_vcc, 1
	.set _ZL26rocblas_haxpy_mod_8_kernelILi256EPK16rocblas_bfloat16S2_PS0_EviT0_lT1_llT2_lli.uses_flat_scratch, 0
	.set _ZL26rocblas_haxpy_mod_8_kernelILi256EPK16rocblas_bfloat16S2_PS0_EviT0_lT1_llT2_lli.has_dyn_sized_stack, 0
	.set _ZL26rocblas_haxpy_mod_8_kernelILi256EPK16rocblas_bfloat16S2_PS0_EviT0_lT1_llT2_lli.has_recursion, 0
	.set _ZL26rocblas_haxpy_mod_8_kernelILi256EPK16rocblas_bfloat16S2_PS0_EviT0_lT1_llT2_lli.has_indirect_call, 0
	.section	.AMDGPU.csdata,"",@progbits
; Kernel info:
; codeLenInByte = 620
; TotalNumSgprs: 26
; NumVgprs: 10
; ScratchSize: 0
; MemoryBound: 0
; FloatMode: 240
; IeeeMode: 1
; LDSByteSize: 0 bytes/workgroup (compile time only)
; SGPRBlocks: 0
; VGPRBlocks: 0
; NumSGPRsForWavesPerEU: 26
; NumVGPRsForWavesPerEU: 10
; NamedBarCnt: 0
; Occupancy: 16
; WaveLimiterHint : 0
; COMPUTE_PGM_RSRC2:SCRATCH_EN: 0
; COMPUTE_PGM_RSRC2:USER_SGPR: 2
; COMPUTE_PGM_RSRC2:TRAP_HANDLER: 0
; COMPUTE_PGM_RSRC2:TGID_X_EN: 1
; COMPUTE_PGM_RSRC2:TGID_Y_EN: 0
; COMPUTE_PGM_RSRC2:TGID_Z_EN: 1
; COMPUTE_PGM_RSRC2:TIDIG_COMP_CNT: 0
	.section	.text._ZL26rocblas_haxpy_mlt_8_kernelILi256EDF16_PK16rocblas_bfloat16PS0_EviT0_lT1_llT2_lli,"axG",@progbits,_ZL26rocblas_haxpy_mlt_8_kernelILi256EDF16_PK16rocblas_bfloat16PS0_EviT0_lT1_llT2_lli,comdat
	.globl	_ZL26rocblas_haxpy_mlt_8_kernelILi256EDF16_PK16rocblas_bfloat16PS0_EviT0_lT1_llT2_lli ; -- Begin function _ZL26rocblas_haxpy_mlt_8_kernelILi256EDF16_PK16rocblas_bfloat16PS0_EviT0_lT1_llT2_lli
	.p2align	8
	.type	_ZL26rocblas_haxpy_mlt_8_kernelILi256EDF16_PK16rocblas_bfloat16PS0_EviT0_lT1_llT2_lli,@function
_ZL26rocblas_haxpy_mlt_8_kernelILi256EDF16_PK16rocblas_bfloat16PS0_EviT0_lT1_llT2_lli: ; @_ZL26rocblas_haxpy_mlt_8_kernelILi256EDF16_PK16rocblas_bfloat16PS0_EviT0_lT1_llT2_lli
; %bb.0:
	s_load_b32 s16, s[0:1], 0x40
	s_bfe_u32 s2, ttmp6, 0x40014
	s_lshr_b32 s3, ttmp7, 16
	s_add_co_i32 s2, s2, 1
	s_bfe_u32 s4, ttmp6, 0x40008
	s_mul_i32 s2, s3, s2
	s_getreg_b32 s17, hwreg(HW_REG_IB_STS2, 6, 4)
	s_add_co_i32 s4, s4, s2
	s_cmp_eq_u32 s17, 0
	s_cselect_b32 s2, s3, s4
	s_mov_b32 s3, 0
	s_wait_kmcnt 0x0
	s_cmp_ge_u32 s2, s16
	s_cbranch_scc1 .LBB122_5
; %bb.1:
	s_clause 0x2
	s_load_b128 s[12:15], s[0:1], 0x30
	s_load_b256 s[4:11], s[0:1], 0x10
	s_load_b64 s[18:19], s[0:1], 0x0
	s_wait_xcnt 0x0
	s_bfe_u32 s0, ttmp6, 0x4000c
	s_and_b32 s1, ttmp6, 15
	s_add_co_i32 s0, s0, 1
	v_mov_b32_e32 v1, 0
	s_mul_i32 s0, ttmp9, s0
	s_delay_alu instid0(SALU_CYCLE_1)
	s_add_co_i32 s1, s1, s0
	s_wait_kmcnt 0x0
	s_lshl_b64 s[12:13], s[12:13], 1
	s_lshl_b64 s[6:7], s[6:7], 1
	s_cmp_eq_u32 s17, 0
	s_add_nc_u64 s[4:5], s[4:5], s[6:7]
	s_cselect_b32 s0, ttmp9, s1
	s_add_nc_u64 s[6:7], s[10:11], s[12:13]
	v_lshl_or_b32 v0, s0, 8, v0
	s_pack_ll_b32_b16 s0, s19, s19
	s_delay_alu instid0(SALU_CYCLE_1) | instskip(NEXT) | instid1(SALU_CYCLE_1)
	s_and_b32 s1, s0, 0x7fff
	s_cmp_lg_u32 s1, 0
	s_delay_alu instid0(VALU_DEP_1) | instskip(SKIP_4) | instid1(VALU_DEP_2)
	v_lshlrev_b64_e32 v[2:3], 3, v[0:1]
	v_lshlrev_b64_e32 v[4:5], 4, v[0:1]
	s_cselect_b32 s17, -1, 0
	s_ashr_i32 s19, s18, 31
	s_mov_b32 s1, s0
	v_cmp_gt_i64_e32 vcc_lo, s[18:19], v[2:3]
	s_delay_alu instid0(VALU_DEP_2)
	v_add_nc_u64_e32 v[0:1], s[4:5], v[4:5]
	v_add_nc_u64_e32 v[2:3], s[6:7], v[4:5]
	s_mov_b32 s4, s0
	s_mov_b32 s6, s0
	s_and_b32 s5, s17, vcc_lo
	s_branch .LBB122_3
.LBB122_2:                              ;   in Loop: Header=BB122_3 Depth=1
	s_wait_xcnt 0x0
	s_or_b32 exec_lo, exec_lo, s7
	s_add_co_i32 s2, s2, 0x10000
	s_delay_alu instid0(SALU_CYCLE_1)
	s_cmp_lt_u32 s2, s16
	s_cbranch_scc0 .LBB122_5
.LBB122_3:                              ; =>This Inner Loop Header: Depth=1
	s_and_saveexec_b32 s7, s5
	s_cbranch_execz .LBB122_2
; %bb.4:                                ;   in Loop: Header=BB122_3 Depth=1
	s_mul_u64 s[10:11], s[14:15], s[2:3]
	s_mul_u64 s[12:13], s[8:9], s[2:3]
	v_lshl_add_u64 v[12:13], s[10:11], 1, v[2:3]
	v_lshl_add_u64 v[14:15], s[12:13], 1, v[0:1]
	global_load_b128 v[4:7], v[12:13], off
	global_load_b128 v[8:11], v[14:15], off
	s_wait_loadcnt 0x0
	v_pk_fma_f16 v7, s6, v11, v7
	v_pk_fma_f16 v6, s4, v10, v6
	;; [unrolled: 1-line block ×4, first 2 shown]
	global_store_b128 v[12:13], v[4:7], off
	s_branch .LBB122_2
.LBB122_5:
	s_endpgm
	.section	.rodata,"a",@progbits
	.p2align	6, 0x0
	.amdhsa_kernel _ZL26rocblas_haxpy_mlt_8_kernelILi256EDF16_PK16rocblas_bfloat16PS0_EviT0_lT1_llT2_lli
		.amdhsa_group_segment_fixed_size 0
		.amdhsa_private_segment_fixed_size 0
		.amdhsa_kernarg_size 68
		.amdhsa_user_sgpr_count 2
		.amdhsa_user_sgpr_dispatch_ptr 0
		.amdhsa_user_sgpr_queue_ptr 0
		.amdhsa_user_sgpr_kernarg_segment_ptr 1
		.amdhsa_user_sgpr_dispatch_id 0
		.amdhsa_user_sgpr_kernarg_preload_length 0
		.amdhsa_user_sgpr_kernarg_preload_offset 0
		.amdhsa_user_sgpr_private_segment_size 0
		.amdhsa_wavefront_size32 1
		.amdhsa_uses_dynamic_stack 0
		.amdhsa_enable_private_segment 0
		.amdhsa_system_sgpr_workgroup_id_x 1
		.amdhsa_system_sgpr_workgroup_id_y 0
		.amdhsa_system_sgpr_workgroup_id_z 1
		.amdhsa_system_sgpr_workgroup_info 0
		.amdhsa_system_vgpr_workitem_id 0
		.amdhsa_next_free_vgpr 16
		.amdhsa_next_free_sgpr 20
		.amdhsa_named_barrier_count 0
		.amdhsa_reserve_vcc 1
		.amdhsa_float_round_mode_32 0
		.amdhsa_float_round_mode_16_64 0
		.amdhsa_float_denorm_mode_32 3
		.amdhsa_float_denorm_mode_16_64 3
		.amdhsa_fp16_overflow 0
		.amdhsa_memory_ordered 1
		.amdhsa_forward_progress 1
		.amdhsa_inst_pref_size 3
		.amdhsa_round_robin_scheduling 0
		.amdhsa_exception_fp_ieee_invalid_op 0
		.amdhsa_exception_fp_denorm_src 0
		.amdhsa_exception_fp_ieee_div_zero 0
		.amdhsa_exception_fp_ieee_overflow 0
		.amdhsa_exception_fp_ieee_underflow 0
		.amdhsa_exception_fp_ieee_inexact 0
		.amdhsa_exception_int_div_zero 0
	.end_amdhsa_kernel
	.section	.text._ZL26rocblas_haxpy_mlt_8_kernelILi256EDF16_PK16rocblas_bfloat16PS0_EviT0_lT1_llT2_lli,"axG",@progbits,_ZL26rocblas_haxpy_mlt_8_kernelILi256EDF16_PK16rocblas_bfloat16PS0_EviT0_lT1_llT2_lli,comdat
.Lfunc_end122:
	.size	_ZL26rocblas_haxpy_mlt_8_kernelILi256EDF16_PK16rocblas_bfloat16PS0_EviT0_lT1_llT2_lli, .Lfunc_end122-_ZL26rocblas_haxpy_mlt_8_kernelILi256EDF16_PK16rocblas_bfloat16PS0_EviT0_lT1_llT2_lli
                                        ; -- End function
	.set _ZL26rocblas_haxpy_mlt_8_kernelILi256EDF16_PK16rocblas_bfloat16PS0_EviT0_lT1_llT2_lli.num_vgpr, 16
	.set _ZL26rocblas_haxpy_mlt_8_kernelILi256EDF16_PK16rocblas_bfloat16PS0_EviT0_lT1_llT2_lli.num_agpr, 0
	.set _ZL26rocblas_haxpy_mlt_8_kernelILi256EDF16_PK16rocblas_bfloat16PS0_EviT0_lT1_llT2_lli.numbered_sgpr, 20
	.set _ZL26rocblas_haxpy_mlt_8_kernelILi256EDF16_PK16rocblas_bfloat16PS0_EviT0_lT1_llT2_lli.num_named_barrier, 0
	.set _ZL26rocblas_haxpy_mlt_8_kernelILi256EDF16_PK16rocblas_bfloat16PS0_EviT0_lT1_llT2_lli.private_seg_size, 0
	.set _ZL26rocblas_haxpy_mlt_8_kernelILi256EDF16_PK16rocblas_bfloat16PS0_EviT0_lT1_llT2_lli.uses_vcc, 1
	.set _ZL26rocblas_haxpy_mlt_8_kernelILi256EDF16_PK16rocblas_bfloat16PS0_EviT0_lT1_llT2_lli.uses_flat_scratch, 0
	.set _ZL26rocblas_haxpy_mlt_8_kernelILi256EDF16_PK16rocblas_bfloat16PS0_EviT0_lT1_llT2_lli.has_dyn_sized_stack, 0
	.set _ZL26rocblas_haxpy_mlt_8_kernelILi256EDF16_PK16rocblas_bfloat16PS0_EviT0_lT1_llT2_lli.has_recursion, 0
	.set _ZL26rocblas_haxpy_mlt_8_kernelILi256EDF16_PK16rocblas_bfloat16PS0_EviT0_lT1_llT2_lli.has_indirect_call, 0
	.section	.AMDGPU.csdata,"",@progbits
; Kernel info:
; codeLenInByte = 384
; TotalNumSgprs: 22
; NumVgprs: 16
; ScratchSize: 0
; MemoryBound: 1
; FloatMode: 240
; IeeeMode: 1
; LDSByteSize: 0 bytes/workgroup (compile time only)
; SGPRBlocks: 0
; VGPRBlocks: 0
; NumSGPRsForWavesPerEU: 22
; NumVGPRsForWavesPerEU: 16
; NamedBarCnt: 0
; Occupancy: 16
; WaveLimiterHint : 0
; COMPUTE_PGM_RSRC2:SCRATCH_EN: 0
; COMPUTE_PGM_RSRC2:USER_SGPR: 2
; COMPUTE_PGM_RSRC2:TRAP_HANDLER: 0
; COMPUTE_PGM_RSRC2:TGID_X_EN: 1
; COMPUTE_PGM_RSRC2:TGID_Y_EN: 0
; COMPUTE_PGM_RSRC2:TGID_Z_EN: 1
; COMPUTE_PGM_RSRC2:TIDIG_COMP_CNT: 0
	.section	.text._ZL26rocblas_haxpy_mod_8_kernelILi256E16rocblas_bfloat16PKS0_PS0_EviT0_lT1_llT2_lli,"axG",@progbits,_ZL26rocblas_haxpy_mod_8_kernelILi256E16rocblas_bfloat16PKS0_PS0_EviT0_lT1_llT2_lli,comdat
	.globl	_ZL26rocblas_haxpy_mod_8_kernelILi256E16rocblas_bfloat16PKS0_PS0_EviT0_lT1_llT2_lli ; -- Begin function _ZL26rocblas_haxpy_mod_8_kernelILi256E16rocblas_bfloat16PKS0_PS0_EviT0_lT1_llT2_lli
	.p2align	8
	.type	_ZL26rocblas_haxpy_mod_8_kernelILi256E16rocblas_bfloat16PKS0_PS0_EviT0_lT1_llT2_lli,@function
_ZL26rocblas_haxpy_mod_8_kernelILi256E16rocblas_bfloat16PKS0_PS0_EviT0_lT1_llT2_lli: ; @_ZL26rocblas_haxpy_mod_8_kernelILi256E16rocblas_bfloat16PKS0_PS0_EviT0_lT1_llT2_lli
; %bb.0:
	s_load_b32 s16, s[0:1], 0x40
	s_bfe_u32 s2, ttmp6, 0x40014
	s_lshr_b32 s3, ttmp7, 16
	s_add_co_i32 s2, s2, 1
	s_bfe_u32 s4, ttmp6, 0x40008
	s_mul_i32 s2, s3, s2
	s_getreg_b32 s17, hwreg(HW_REG_IB_STS2, 6, 4)
	s_add_co_i32 s4, s4, s2
	s_cmp_eq_u32 s17, 0
	s_cselect_b32 s2, s3, s4
	s_mov_b32 s3, 0
	s_wait_kmcnt 0x0
	s_cmp_ge_u32 s2, s16
	s_cbranch_scc1 .LBB123_13
; %bb.1:
	s_clause 0x2
	s_load_b256 s[4:11], s[0:1], 0x10
	s_load_b64 s[18:19], s[0:1], 0x0
	s_load_b128 s[12:15], s[0:1], 0x30
	s_wait_xcnt 0x0
	s_bfe_u32 s0, ttmp6, 0x4000c
	s_and_b32 s1, ttmp6, 15
	s_add_co_i32 s0, s0, 1
	v_mov_b32_e32 v1, 0
	s_mul_i32 s0, ttmp9, s0
	s_delay_alu instid0(SALU_CYCLE_1) | instskip(SKIP_2) | instid1(SALU_CYCLE_1)
	s_add_co_i32 s1, s1, s0
	s_cmp_eq_u32 s17, 0
	s_cselect_b32 s0, ttmp9, s1
	v_lshl_or_b32 v0, s0, 8, v0
	s_delay_alu instid0(VALU_DEP_1)
	v_lshlrev_b64_e32 v[2:3], 1, v[0:1]
	s_wait_kmcnt 0x0
	s_lshl_b64 s[0:1], s[6:7], 1
	s_and_b32 s17, s19, 0x7fff
	s_lshl_b64 s[6:7], s[12:13], 1
	s_cmp_lg_u32 s17, 0
	s_mov_b32 s12, s18
	s_cselect_b32 s17, -1, 0
	s_ashr_i32 s13, s18, 31
	s_add_nc_u64 s[0:1], s[4:5], s[0:1]
	v_cmp_gt_i64_e32 vcc_lo, s[12:13], v[0:1]
	s_add_nc_u64 s[4:5], s[10:11], s[6:7]
	v_add_nc_u64_e32 v[0:1], s[0:1], v[2:3]
	v_add_nc_u64_e32 v[2:3], s[4:5], v[2:3]
	s_lshl_b32 s1, s19, 16
	s_and_b32 s0, vcc_lo, s17
	s_branch .LBB123_4
.LBB123_2:                              ;   in Loop: Header=BB123_4 Depth=1
	s_or_b32 exec_lo, exec_lo, s5
	global_store_d16_hi_b16 v[4:5], v7, off
.LBB123_3:                              ;   in Loop: Header=BB123_4 Depth=1
	s_wait_xcnt 0x0
	s_or_b32 exec_lo, exec_lo, s4
	s_add_co_i32 s2, s2, 0x10000
	s_delay_alu instid0(SALU_CYCLE_1)
	s_cmp_lt_u32 s2, s16
	s_cbranch_scc0 .LBB123_13
.LBB123_4:                              ; =>This Inner Loop Header: Depth=1
	s_and_saveexec_b32 s4, s0
	s_cbranch_execz .LBB123_3
; %bb.5:                                ;   in Loop: Header=BB123_4 Depth=1
	s_mul_u64 s[6:7], s[8:9], s[2:3]
	s_mov_b32 s5, exec_lo
	v_lshl_add_u64 v[4:5], s[6:7], 1, v[0:1]
                                        ; implicit-def: $vgpr6
	global_load_u16 v4, v[4:5], off
	s_wait_loadcnt 0x0
	s_wait_xcnt 0x0
	v_lshlrev_b32_e32 v4, 16, v4
	s_delay_alu instid0(VALU_DEP_1) | instskip(NEXT) | instid1(VALU_DEP_1)
	v_mul_f32_e32 v4, s1, v4
	v_and_b32_e32 v5, 0x7f800000, v4
	s_delay_alu instid0(VALU_DEP_1)
	v_cmpx_ne_u32_e32 0x7f800000, v5
	s_xor_b32 s5, exec_lo, s5
; %bb.6:                                ;   in Loop: Header=BB123_4 Depth=1
	v_bfe_u32 v5, v4, 16, 1
	s_delay_alu instid0(VALU_DEP_1)
	v_add3_u32 v6, v4, v5, 0x7fff
                                        ; implicit-def: $vgpr4
; %bb.7:                                ;   in Loop: Header=BB123_4 Depth=1
	s_and_not1_saveexec_b32 s5, s5
; %bb.8:                                ;   in Loop: Header=BB123_4 Depth=1
	v_and_b32_e32 v5, 0xffff, v4
	v_or_b32_e32 v6, 0x10000, v4
	s_delay_alu instid0(VALU_DEP_2) | instskip(NEXT) | instid1(VALU_DEP_2)
	v_cmp_eq_u32_e32 vcc_lo, 0, v5
	v_cndmask_b32_e32 v6, v6, v4, vcc_lo
; %bb.9:                                ;   in Loop: Header=BB123_4 Depth=1
	s_or_b32 exec_lo, exec_lo, s5
	s_mul_u64 s[6:7], s[14:15], s[2:3]
	s_delay_alu instid0(VALU_DEP_1) | instskip(SKIP_4) | instid1(VALU_DEP_1)
	v_and_b32_e32 v6, 0xffff0000, v6
	v_lshl_add_u64 v[4:5], s[6:7], 1, v[2:3]
	global_load_u16 v7, v[4:5], off
	s_wait_loadcnt 0x0
	v_lshlrev_b32_e32 v7, 16, v7
	v_add_f32_e32 v6, v6, v7
	s_delay_alu instid0(VALU_DEP_1) | instskip(NEXT) | instid1(VALU_DEP_1)
	v_and_b32_e32 v7, 0x7f800000, v6
	v_cmp_ne_u32_e32 vcc_lo, 0x7f800000, v7
                                        ; implicit-def: $vgpr7
	s_wait_xcnt 0x0
	s_and_saveexec_b32 s5, vcc_lo
	s_delay_alu instid0(SALU_CYCLE_1)
	s_xor_b32 s5, exec_lo, s5
; %bb.10:                               ;   in Loop: Header=BB123_4 Depth=1
	v_bfe_u32 v7, v6, 16, 1
	s_delay_alu instid0(VALU_DEP_1)
	v_add3_u32 v7, v6, v7, 0x7fff
                                        ; implicit-def: $vgpr6
; %bb.11:                               ;   in Loop: Header=BB123_4 Depth=1
	s_and_not1_saveexec_b32 s5, s5
	s_cbranch_execz .LBB123_2
; %bb.12:                               ;   in Loop: Header=BB123_4 Depth=1
	v_and_b32_e32 v7, 0xffff, v6
	v_or_b32_e32 v8, 0x10000, v6
	s_delay_alu instid0(VALU_DEP_2) | instskip(NEXT) | instid1(VALU_DEP_2)
	v_cmp_eq_u32_e32 vcc_lo, 0, v7
	v_cndmask_b32_e32 v7, v8, v6, vcc_lo
	s_branch .LBB123_2
.LBB123_13:
	s_endpgm
	.section	.rodata,"a",@progbits
	.p2align	6, 0x0
	.amdhsa_kernel _ZL26rocblas_haxpy_mod_8_kernelILi256E16rocblas_bfloat16PKS0_PS0_EviT0_lT1_llT2_lli
		.amdhsa_group_segment_fixed_size 0
		.amdhsa_private_segment_fixed_size 0
		.amdhsa_kernarg_size 68
		.amdhsa_user_sgpr_count 2
		.amdhsa_user_sgpr_dispatch_ptr 0
		.amdhsa_user_sgpr_queue_ptr 0
		.amdhsa_user_sgpr_kernarg_segment_ptr 1
		.amdhsa_user_sgpr_dispatch_id 0
		.amdhsa_user_sgpr_kernarg_preload_length 0
		.amdhsa_user_sgpr_kernarg_preload_offset 0
		.amdhsa_user_sgpr_private_segment_size 0
		.amdhsa_wavefront_size32 1
		.amdhsa_uses_dynamic_stack 0
		.amdhsa_enable_private_segment 0
		.amdhsa_system_sgpr_workgroup_id_x 1
		.amdhsa_system_sgpr_workgroup_id_y 0
		.amdhsa_system_sgpr_workgroup_id_z 1
		.amdhsa_system_sgpr_workgroup_info 0
		.amdhsa_system_vgpr_workitem_id 0
		.amdhsa_next_free_vgpr 9
		.amdhsa_next_free_sgpr 20
		.amdhsa_named_barrier_count 0
		.amdhsa_reserve_vcc 1
		.amdhsa_float_round_mode_32 0
		.amdhsa_float_round_mode_16_64 0
		.amdhsa_float_denorm_mode_32 3
		.amdhsa_float_denorm_mode_16_64 3
		.amdhsa_fp16_overflow 0
		.amdhsa_memory_ordered 1
		.amdhsa_forward_progress 1
		.amdhsa_inst_pref_size 5
		.amdhsa_round_robin_scheduling 0
		.amdhsa_exception_fp_ieee_invalid_op 0
		.amdhsa_exception_fp_denorm_src 0
		.amdhsa_exception_fp_ieee_div_zero 0
		.amdhsa_exception_fp_ieee_overflow 0
		.amdhsa_exception_fp_ieee_underflow 0
		.amdhsa_exception_fp_ieee_inexact 0
		.amdhsa_exception_int_div_zero 0
	.end_amdhsa_kernel
	.section	.text._ZL26rocblas_haxpy_mod_8_kernelILi256E16rocblas_bfloat16PKS0_PS0_EviT0_lT1_llT2_lli,"axG",@progbits,_ZL26rocblas_haxpy_mod_8_kernelILi256E16rocblas_bfloat16PKS0_PS0_EviT0_lT1_llT2_lli,comdat
.Lfunc_end123:
	.size	_ZL26rocblas_haxpy_mod_8_kernelILi256E16rocblas_bfloat16PKS0_PS0_EviT0_lT1_llT2_lli, .Lfunc_end123-_ZL26rocblas_haxpy_mod_8_kernelILi256E16rocblas_bfloat16PKS0_PS0_EviT0_lT1_llT2_lli
                                        ; -- End function
	.set _ZL26rocblas_haxpy_mod_8_kernelILi256E16rocblas_bfloat16PKS0_PS0_EviT0_lT1_llT2_lli.num_vgpr, 9
	.set _ZL26rocblas_haxpy_mod_8_kernelILi256E16rocblas_bfloat16PKS0_PS0_EviT0_lT1_llT2_lli.num_agpr, 0
	.set _ZL26rocblas_haxpy_mod_8_kernelILi256E16rocblas_bfloat16PKS0_PS0_EviT0_lT1_llT2_lli.numbered_sgpr, 20
	.set _ZL26rocblas_haxpy_mod_8_kernelILi256E16rocblas_bfloat16PKS0_PS0_EviT0_lT1_llT2_lli.num_named_barrier, 0
	.set _ZL26rocblas_haxpy_mod_8_kernelILi256E16rocblas_bfloat16PKS0_PS0_EviT0_lT1_llT2_lli.private_seg_size, 0
	.set _ZL26rocblas_haxpy_mod_8_kernelILi256E16rocblas_bfloat16PKS0_PS0_EviT0_lT1_llT2_lli.uses_vcc, 1
	.set _ZL26rocblas_haxpy_mod_8_kernelILi256E16rocblas_bfloat16PKS0_PS0_EviT0_lT1_llT2_lli.uses_flat_scratch, 0
	.set _ZL26rocblas_haxpy_mod_8_kernelILi256E16rocblas_bfloat16PKS0_PS0_EviT0_lT1_llT2_lli.has_dyn_sized_stack, 0
	.set _ZL26rocblas_haxpy_mod_8_kernelILi256E16rocblas_bfloat16PKS0_PS0_EviT0_lT1_llT2_lli.has_recursion, 0
	.set _ZL26rocblas_haxpy_mod_8_kernelILi256E16rocblas_bfloat16PKS0_PS0_EviT0_lT1_llT2_lli.has_indirect_call, 0
	.section	.AMDGPU.csdata,"",@progbits
; Kernel info:
; codeLenInByte = 560
; TotalNumSgprs: 22
; NumVgprs: 9
; ScratchSize: 0
; MemoryBound: 0
; FloatMode: 240
; IeeeMode: 1
; LDSByteSize: 0 bytes/workgroup (compile time only)
; SGPRBlocks: 0
; VGPRBlocks: 0
; NumSGPRsForWavesPerEU: 22
; NumVGPRsForWavesPerEU: 9
; NamedBarCnt: 0
; Occupancy: 16
; WaveLimiterHint : 0
; COMPUTE_PGM_RSRC2:SCRATCH_EN: 0
; COMPUTE_PGM_RSRC2:USER_SGPR: 2
; COMPUTE_PGM_RSRC2:TRAP_HANDLER: 0
; COMPUTE_PGM_RSRC2:TGID_X_EN: 1
; COMPUTE_PGM_RSRC2:TGID_Y_EN: 0
; COMPUTE_PGM_RSRC2:TGID_Z_EN: 1
; COMPUTE_PGM_RSRC2:TIDIG_COMP_CNT: 0
	.section	.text._ZL22rocblas_saxpy_2_kernelILi256EfPK16rocblas_bfloat16S2_PS0_EviT1_lT2_llT3_lli,"axG",@progbits,_ZL22rocblas_saxpy_2_kernelILi256EfPK16rocblas_bfloat16S2_PS0_EviT1_lT2_llT3_lli,comdat
	.globl	_ZL22rocblas_saxpy_2_kernelILi256EfPK16rocblas_bfloat16S2_PS0_EviT1_lT2_llT3_lli ; -- Begin function _ZL22rocblas_saxpy_2_kernelILi256EfPK16rocblas_bfloat16S2_PS0_EviT1_lT2_llT3_lli
	.p2align	8
	.type	_ZL22rocblas_saxpy_2_kernelILi256EfPK16rocblas_bfloat16S2_PS0_EviT1_lT2_llT3_lli,@function
_ZL22rocblas_saxpy_2_kernelILi256EfPK16rocblas_bfloat16S2_PS0_EviT1_lT2_llT3_lli: ; @_ZL22rocblas_saxpy_2_kernelILi256EfPK16rocblas_bfloat16S2_PS0_EviT1_lT2_llT3_lli
; %bb.0:
	s_load_b32 s16, s[0:1], 0x48
	s_bfe_u32 s2, ttmp6, 0x40014
	s_lshr_b32 s3, ttmp7, 16
	s_add_co_i32 s2, s2, 1
	s_bfe_u32 s4, ttmp6, 0x40008
	s_mul_i32 s2, s3, s2
	s_getreg_b32 s17, hwreg(HW_REG_IB_STS2, 6, 4)
	s_add_co_i32 s4, s4, s2
	s_cmp_eq_u32 s17, 0
	s_cselect_b32 s2, s3, s4
	s_mov_b32 s3, 0
	s_wait_kmcnt 0x0
	s_cmp_ge_u32 s2, s16
	s_cbranch_scc1 .LBB124_33
; %bb.1:
	s_clause 0x4
	s_load_b32 s22, s[0:1], 0x0
	s_load_b128 s[4:7], s[0:1], 0x20
	s_load_b128 s[8:11], s[0:1], 0x38
	s_load_b64 s[18:19], s[0:1], 0x18
	s_load_b64 s[20:21], s[0:1], 0x30
	s_bfe_u32 s23, ttmp6, 0x4000c
	s_load_b128 s[12:15], s[0:1], 0x8
	s_add_co_i32 s23, s23, 1
	s_wait_xcnt 0x0
	s_and_b32 s0, ttmp6, 15
	s_mul_i32 s1, ttmp9, s23
	v_dual_mov_b32 v1, 0 :: v_dual_lshlrev_b32 v0, 1, v0
	s_add_co_i32 s0, s0, s1
	s_cmp_eq_u32 s17, 0
	s_cselect_b32 s0, ttmp9, s0
	s_delay_alu instid0(VALU_DEP_1) | instid1(SALU_CYCLE_1)
	v_lshl_or_b32 v0, s0, 9, v0
	s_wait_kmcnt 0x0
	s_add_co_i32 s0, s22, -1
	s_lshl_b64 s[4:5], s[4:5], 1
	s_ashr_i32 s1, s0, 31
	s_lshl_b64 s[8:9], s[8:9], 1
	v_cmp_eq_u64_e32 vcc_lo, s[0:1], v[0:1]
	v_cmp_gt_i64_e64 s0, s[0:1], v[0:1]
	v_lshlrev_b64_e32 v[2:3], 1, v[0:1]
	s_bitcmp1_b32 s22, 0
	s_add_nc_u64 s[4:5], s[18:19], s[4:5]
	s_cselect_b32 s1, -1, 0
	s_add_nc_u64 s[8:9], s[20:21], s[8:9]
	s_and_b32 s1, s1, vcc_lo
	s_branch .LBB124_5
.LBB124_2:                              ;   in Loop: Header=BB124_5 Depth=1
	s_or_b32 exec_lo, exec_lo, s18
	global_store_d16_hi_b16 v[4:5], v6, off
.LBB124_3:                              ;   in Loop: Header=BB124_5 Depth=1
	s_wait_xcnt 0x0
	s_or_b32 exec_lo, exec_lo, s17
.LBB124_4:                              ;   in Loop: Header=BB124_5 Depth=1
	s_add_co_i32 s2, s2, 0x10000
	s_delay_alu instid0(SALU_CYCLE_1)
	s_cmp_lt_u32 s2, s16
	s_cbranch_scc0 .LBB124_33
.LBB124_5:                              ; =>This Inner Loop Header: Depth=1
	s_wait_xcnt 0x0
	s_mul_u64 s[18:19], s[14:15], s[2:3]
	s_delay_alu instid0(SALU_CYCLE_1) | instskip(NEXT) | instid1(SALU_CYCLE_1)
	s_lshl_b64 s[18:19], s[18:19], 1
	s_add_nc_u64 s[18:19], s[12:13], s[18:19]
	global_load_u16 v0, v1, s[18:19]
	s_wait_loadcnt 0x0
	v_and_b32_e32 v4, 0x7fff, v0
	s_delay_alu instid0(VALU_DEP_1)
	v_cmp_eq_u32_e32 vcc_lo, 0, v4
	s_cbranch_vccnz .LBB124_4
; %bb.6:                                ;   in Loop: Header=BB124_5 Depth=1
	s_wait_xcnt 0x0
	s_mul_u64 s[18:19], s[10:11], s[2:3]
	s_mul_u64 s[20:21], s[6:7], s[2:3]
	s_lshl_b64 s[18:19], s[18:19], 1
	s_lshl_b64 s[20:21], s[20:21], 1
	s_add_nc_u64 s[18:19], s[8:9], s[18:19]
	s_add_nc_u64 s[20:21], s[4:5], s[20:21]
	v_add_nc_u64_e32 v[4:5], s[18:19], v[2:3]
	v_add_nc_u64_e32 v[8:9], s[20:21], v[2:3]
	v_lshlrev_b32_e32 v6, 16, v0
	s_and_saveexec_b32 s17, s0
	s_cbranch_execz .LBB124_24
; %bb.7:                                ;   in Loop: Header=BB124_5 Depth=1
	global_load_u16 v7, v[8:9], off
	global_load_u16 v0, v[4:5], off
	s_wait_loadcnt 0x1
	v_lshlrev_b32_e32 v7, 16, v7
	s_delay_alu instid0(VALU_DEP_1) | instskip(NEXT) | instid1(VALU_DEP_1)
	v_mov_b32_e32 v10, v7
	v_pk_mul_f32 v[10:11], v[10:11], v[6:7]
	s_delay_alu instid0(VALU_DEP_1) | instskip(NEXT) | instid1(VALU_DEP_1)
	v_and_b32_e32 v7, 0x7f800000, v10
	v_cmp_ne_u32_e32 vcc_lo, 0x7f800000, v7
                                        ; implicit-def: $vgpr7
	s_wait_xcnt 0x0
	s_and_saveexec_b32 s18, vcc_lo
	s_delay_alu instid0(SALU_CYCLE_1)
	s_xor_b32 s18, exec_lo, s18
; %bb.8:                                ;   in Loop: Header=BB124_5 Depth=1
	v_bfe_u32 v7, v10, 16, 1
	s_delay_alu instid0(VALU_DEP_1)
	v_add3_u32 v7, v10, v7, 0x7fff
                                        ; implicit-def: $vgpr10_vgpr11
; %bb.9:                                ;   in Loop: Header=BB124_5 Depth=1
	s_and_not1_saveexec_b32 s18, s18
; %bb.10:                               ;   in Loop: Header=BB124_5 Depth=1
	v_and_b32_e32 v7, 0xffff, v10
	v_or_b32_e32 v11, 0x10000, v10
	s_delay_alu instid0(VALU_DEP_2) | instskip(NEXT) | instid1(VALU_DEP_2)
	v_cmp_eq_u32_e32 vcc_lo, 0, v7
	v_cndmask_b32_e32 v7, v11, v10, vcc_lo
; %bb.11:                               ;   in Loop: Header=BB124_5 Depth=1
	s_or_b32 exec_lo, exec_lo, s18
	s_delay_alu instid0(VALU_DEP_1) | instskip(SKIP_2) | instid1(VALU_DEP_1)
	v_and_b32_e32 v7, 0xffff0000, v7
	s_wait_loadcnt 0x0
	v_lshlrev_b32_e32 v0, 16, v0
	v_add_f32_e32 v0, v0, v7
	s_delay_alu instid0(VALU_DEP_1) | instskip(NEXT) | instid1(VALU_DEP_1)
	v_and_b32_e32 v7, 0x7f800000, v0
	v_cmp_ne_u32_e32 vcc_lo, 0x7f800000, v7
                                        ; implicit-def: $vgpr7
	s_and_saveexec_b32 s18, vcc_lo
	s_delay_alu instid0(SALU_CYCLE_1)
	s_xor_b32 s18, exec_lo, s18
; %bb.12:                               ;   in Loop: Header=BB124_5 Depth=1
	v_bfe_u32 v7, v0, 16, 1
	s_delay_alu instid0(VALU_DEP_1)
	v_add3_u32 v7, v0, v7, 0x7fff
                                        ; implicit-def: $vgpr0
; %bb.13:                               ;   in Loop: Header=BB124_5 Depth=1
	s_and_not1_saveexec_b32 s18, s18
; %bb.14:                               ;   in Loop: Header=BB124_5 Depth=1
	v_and_b32_e32 v7, 0xffff, v0
	v_or_b32_e32 v10, 0x10000, v0
	s_delay_alu instid0(VALU_DEP_2) | instskip(NEXT) | instid1(VALU_DEP_2)
	v_cmp_eq_u32_e32 vcc_lo, 0, v7
	v_cndmask_b32_e32 v7, v10, v0, vcc_lo
; %bb.15:                               ;   in Loop: Header=BB124_5 Depth=1
	s_or_b32 exec_lo, exec_lo, s18
	global_load_u16 v10, v[8:9], off offset:2
	global_load_u16 v0, v[4:5], off offset:2
	s_mov_b32 s18, exec_lo
	global_store_d16_hi_b16 v[4:5], v7, off
                                        ; implicit-def: $vgpr7
	s_wait_loadcnt 0x1
	v_lshlrev_b32_e32 v10, 16, v10
	s_delay_alu instid0(VALU_DEP_1) | instskip(NEXT) | instid1(VALU_DEP_1)
	v_mul_f32_e32 v10, v6, v10
	v_and_b32_e32 v11, 0x7f800000, v10
	s_wait_xcnt 0x0
	s_delay_alu instid0(VALU_DEP_1)
	v_cmpx_ne_u32_e32 0x7f800000, v11
	s_xor_b32 s18, exec_lo, s18
; %bb.16:                               ;   in Loop: Header=BB124_5 Depth=1
	v_bfe_u32 v7, v10, 16, 1
	s_delay_alu instid0(VALU_DEP_1)
	v_add3_u32 v7, v10, v7, 0x7fff
                                        ; implicit-def: $vgpr10
; %bb.17:                               ;   in Loop: Header=BB124_5 Depth=1
	s_and_not1_saveexec_b32 s18, s18
; %bb.18:                               ;   in Loop: Header=BB124_5 Depth=1
	v_and_b32_e32 v7, 0xffff, v10
	v_or_b32_e32 v11, 0x10000, v10
	s_delay_alu instid0(VALU_DEP_2) | instskip(NEXT) | instid1(VALU_DEP_2)
	v_cmp_eq_u32_e32 vcc_lo, 0, v7
	v_cndmask_b32_e32 v7, v11, v10, vcc_lo
; %bb.19:                               ;   in Loop: Header=BB124_5 Depth=1
	s_or_b32 exec_lo, exec_lo, s18
	s_delay_alu instid0(VALU_DEP_1) | instskip(SKIP_2) | instid1(VALU_DEP_1)
	v_and_b32_e32 v7, 0xffff0000, v7
	s_wait_loadcnt 0x0
	v_lshlrev_b32_e32 v0, 16, v0
	v_add_f32_e32 v0, v0, v7
	s_delay_alu instid0(VALU_DEP_1) | instskip(NEXT) | instid1(VALU_DEP_1)
	v_and_b32_e32 v7, 0x7f800000, v0
	v_cmp_ne_u32_e32 vcc_lo, 0x7f800000, v7
                                        ; implicit-def: $vgpr7
	s_and_saveexec_b32 s18, vcc_lo
	s_delay_alu instid0(SALU_CYCLE_1)
	s_xor_b32 s18, exec_lo, s18
; %bb.20:                               ;   in Loop: Header=BB124_5 Depth=1
	v_bfe_u32 v7, v0, 16, 1
	s_delay_alu instid0(VALU_DEP_1)
	v_add3_u32 v7, v0, v7, 0x7fff
                                        ; implicit-def: $vgpr0
; %bb.21:                               ;   in Loop: Header=BB124_5 Depth=1
	s_and_not1_saveexec_b32 s18, s18
; %bb.22:                               ;   in Loop: Header=BB124_5 Depth=1
	v_and_b32_e32 v7, 0xffff, v0
	v_or_b32_e32 v10, 0x10000, v0
	s_delay_alu instid0(VALU_DEP_2) | instskip(NEXT) | instid1(VALU_DEP_2)
	v_cmp_eq_u32_e32 vcc_lo, 0, v7
	v_cndmask_b32_e32 v7, v10, v0, vcc_lo
; %bb.23:                               ;   in Loop: Header=BB124_5 Depth=1
	s_or_b32 exec_lo, exec_lo, s18
	global_store_d16_hi_b16 v[4:5], v7, off offset:2
.LBB124_24:                             ;   in Loop: Header=BB124_5 Depth=1
	s_wait_xcnt 0x0
	s_or_b32 exec_lo, exec_lo, s17
	s_and_saveexec_b32 s17, s1
	s_cbranch_execz .LBB124_3
; %bb.25:                               ;   in Loop: Header=BB124_5 Depth=1
	global_load_u16 v7, v[8:9], off
	global_load_u16 v0, v[4:5], off
	s_wait_loadcnt 0x1
	v_lshlrev_b32_e32 v7, 16, v7
	s_delay_alu instid0(VALU_DEP_1) | instskip(NEXT) | instid1(VALU_DEP_1)
	v_mul_f32_e32 v6, v7, v6
	v_and_b32_e32 v7, 0x7f800000, v6
	s_delay_alu instid0(VALU_DEP_1) | instskip(SKIP_2) | instid1(SALU_CYCLE_1)
	v_cmp_ne_u32_e32 vcc_lo, 0x7f800000, v7
                                        ; implicit-def: $vgpr7
	s_wait_xcnt 0x0
	s_and_saveexec_b32 s18, vcc_lo
	s_xor_b32 s18, exec_lo, s18
; %bb.26:                               ;   in Loop: Header=BB124_5 Depth=1
	v_bfe_u32 v7, v6, 16, 1
	s_delay_alu instid0(VALU_DEP_1)
	v_add3_u32 v7, v6, v7, 0x7fff
                                        ; implicit-def: $vgpr6
; %bb.27:                               ;   in Loop: Header=BB124_5 Depth=1
	s_and_not1_saveexec_b32 s18, s18
; %bb.28:                               ;   in Loop: Header=BB124_5 Depth=1
	v_and_b32_e32 v7, 0xffff, v6
	v_or_b32_e32 v8, 0x10000, v6
	s_delay_alu instid0(VALU_DEP_2) | instskip(NEXT) | instid1(VALU_DEP_2)
	v_cmp_eq_u32_e32 vcc_lo, 0, v7
	v_cndmask_b32_e32 v7, v8, v6, vcc_lo
; %bb.29:                               ;   in Loop: Header=BB124_5 Depth=1
	s_or_b32 exec_lo, exec_lo, s18
	s_delay_alu instid0(VALU_DEP_1) | instskip(SKIP_2) | instid1(VALU_DEP_1)
	v_and_b32_e32 v6, 0xffff0000, v7
	s_wait_loadcnt 0x0
	v_lshlrev_b32_e32 v0, 16, v0
	v_add_f32_e32 v0, v0, v6
	s_delay_alu instid0(VALU_DEP_1) | instskip(NEXT) | instid1(VALU_DEP_1)
	v_and_b32_e32 v6, 0x7f800000, v0
	v_cmp_ne_u32_e32 vcc_lo, 0x7f800000, v6
                                        ; implicit-def: $vgpr6
	s_and_saveexec_b32 s18, vcc_lo
	s_delay_alu instid0(SALU_CYCLE_1)
	s_xor_b32 s18, exec_lo, s18
; %bb.30:                               ;   in Loop: Header=BB124_5 Depth=1
	v_bfe_u32 v6, v0, 16, 1
	s_delay_alu instid0(VALU_DEP_1)
	v_add3_u32 v6, v0, v6, 0x7fff
                                        ; implicit-def: $vgpr0
; %bb.31:                               ;   in Loop: Header=BB124_5 Depth=1
	s_and_not1_saveexec_b32 s18, s18
	s_cbranch_execz .LBB124_2
; %bb.32:                               ;   in Loop: Header=BB124_5 Depth=1
	v_and_b32_e32 v6, 0xffff, v0
	v_or_b32_e32 v7, 0x10000, v0
	s_delay_alu instid0(VALU_DEP_2) | instskip(NEXT) | instid1(VALU_DEP_2)
	v_cmp_eq_u32_e32 vcc_lo, 0, v6
	v_cndmask_b32_e32 v6, v7, v0, vcc_lo
	s_branch .LBB124_2
.LBB124_33:
	s_endpgm
	.section	.rodata,"a",@progbits
	.p2align	6, 0x0
	.amdhsa_kernel _ZL22rocblas_saxpy_2_kernelILi256EfPK16rocblas_bfloat16S2_PS0_EviT1_lT2_llT3_lli
		.amdhsa_group_segment_fixed_size 0
		.amdhsa_private_segment_fixed_size 0
		.amdhsa_kernarg_size 76
		.amdhsa_user_sgpr_count 2
		.amdhsa_user_sgpr_dispatch_ptr 0
		.amdhsa_user_sgpr_queue_ptr 0
		.amdhsa_user_sgpr_kernarg_segment_ptr 1
		.amdhsa_user_sgpr_dispatch_id 0
		.amdhsa_user_sgpr_kernarg_preload_length 0
		.amdhsa_user_sgpr_kernarg_preload_offset 0
		.amdhsa_user_sgpr_private_segment_size 0
		.amdhsa_wavefront_size32 1
		.amdhsa_uses_dynamic_stack 0
		.amdhsa_enable_private_segment 0
		.amdhsa_system_sgpr_workgroup_id_x 1
		.amdhsa_system_sgpr_workgroup_id_y 0
		.amdhsa_system_sgpr_workgroup_id_z 1
		.amdhsa_system_sgpr_workgroup_info 0
		.amdhsa_system_vgpr_workitem_id 0
		.amdhsa_next_free_vgpr 12
		.amdhsa_next_free_sgpr 24
		.amdhsa_named_barrier_count 0
		.amdhsa_reserve_vcc 1
		.amdhsa_float_round_mode_32 0
		.amdhsa_float_round_mode_16_64 0
		.amdhsa_float_denorm_mode_32 3
		.amdhsa_float_denorm_mode_16_64 3
		.amdhsa_fp16_overflow 0
		.amdhsa_memory_ordered 1
		.amdhsa_forward_progress 1
		.amdhsa_inst_pref_size 10
		.amdhsa_round_robin_scheduling 0
		.amdhsa_exception_fp_ieee_invalid_op 0
		.amdhsa_exception_fp_denorm_src 0
		.amdhsa_exception_fp_ieee_div_zero 0
		.amdhsa_exception_fp_ieee_overflow 0
		.amdhsa_exception_fp_ieee_underflow 0
		.amdhsa_exception_fp_ieee_inexact 0
		.amdhsa_exception_int_div_zero 0
	.end_amdhsa_kernel
	.section	.text._ZL22rocblas_saxpy_2_kernelILi256EfPK16rocblas_bfloat16S2_PS0_EviT1_lT2_llT3_lli,"axG",@progbits,_ZL22rocblas_saxpy_2_kernelILi256EfPK16rocblas_bfloat16S2_PS0_EviT1_lT2_llT3_lli,comdat
.Lfunc_end124:
	.size	_ZL22rocblas_saxpy_2_kernelILi256EfPK16rocblas_bfloat16S2_PS0_EviT1_lT2_llT3_lli, .Lfunc_end124-_ZL22rocblas_saxpy_2_kernelILi256EfPK16rocblas_bfloat16S2_PS0_EviT1_lT2_llT3_lli
                                        ; -- End function
	.set _ZL22rocblas_saxpy_2_kernelILi256EfPK16rocblas_bfloat16S2_PS0_EviT1_lT2_llT3_lli.num_vgpr, 12
	.set _ZL22rocblas_saxpy_2_kernelILi256EfPK16rocblas_bfloat16S2_PS0_EviT1_lT2_llT3_lli.num_agpr, 0
	.set _ZL22rocblas_saxpy_2_kernelILi256EfPK16rocblas_bfloat16S2_PS0_EviT1_lT2_llT3_lli.numbered_sgpr, 24
	.set _ZL22rocblas_saxpy_2_kernelILi256EfPK16rocblas_bfloat16S2_PS0_EviT1_lT2_llT3_lli.num_named_barrier, 0
	.set _ZL22rocblas_saxpy_2_kernelILi256EfPK16rocblas_bfloat16S2_PS0_EviT1_lT2_llT3_lli.private_seg_size, 0
	.set _ZL22rocblas_saxpy_2_kernelILi256EfPK16rocblas_bfloat16S2_PS0_EviT1_lT2_llT3_lli.uses_vcc, 1
	.set _ZL22rocblas_saxpy_2_kernelILi256EfPK16rocblas_bfloat16S2_PS0_EviT1_lT2_llT3_lli.uses_flat_scratch, 0
	.set _ZL22rocblas_saxpy_2_kernelILi256EfPK16rocblas_bfloat16S2_PS0_EviT1_lT2_llT3_lli.has_dyn_sized_stack, 0
	.set _ZL22rocblas_saxpy_2_kernelILi256EfPK16rocblas_bfloat16S2_PS0_EviT1_lT2_llT3_lli.has_recursion, 0
	.set _ZL22rocblas_saxpy_2_kernelILi256EfPK16rocblas_bfloat16S2_PS0_EviT1_lT2_llT3_lli.has_indirect_call, 0
	.section	.AMDGPU.csdata,"",@progbits
; Kernel info:
; codeLenInByte = 1188
; TotalNumSgprs: 26
; NumVgprs: 12
; ScratchSize: 0
; MemoryBound: 0
; FloatMode: 240
; IeeeMode: 1
; LDSByteSize: 0 bytes/workgroup (compile time only)
; SGPRBlocks: 0
; VGPRBlocks: 0
; NumSGPRsForWavesPerEU: 26
; NumVGPRsForWavesPerEU: 12
; NamedBarCnt: 0
; Occupancy: 16
; WaveLimiterHint : 0
; COMPUTE_PGM_RSRC2:SCRATCH_EN: 0
; COMPUTE_PGM_RSRC2:USER_SGPR: 2
; COMPUTE_PGM_RSRC2:TRAP_HANDLER: 0
; COMPUTE_PGM_RSRC2:TGID_X_EN: 1
; COMPUTE_PGM_RSRC2:TGID_Y_EN: 0
; COMPUTE_PGM_RSRC2:TGID_Z_EN: 1
; COMPUTE_PGM_RSRC2:TIDIG_COMP_CNT: 0
	.section	.text._ZL22rocblas_saxpy_2_kernelILi256Ef16rocblas_bfloat16PKS0_PS0_EviT1_lT2_llT3_lli,"axG",@progbits,_ZL22rocblas_saxpy_2_kernelILi256Ef16rocblas_bfloat16PKS0_PS0_EviT1_lT2_llT3_lli,comdat
	.globl	_ZL22rocblas_saxpy_2_kernelILi256Ef16rocblas_bfloat16PKS0_PS0_EviT1_lT2_llT3_lli ; -- Begin function _ZL22rocblas_saxpy_2_kernelILi256Ef16rocblas_bfloat16PKS0_PS0_EviT1_lT2_llT3_lli
	.p2align	8
	.type	_ZL22rocblas_saxpy_2_kernelILi256Ef16rocblas_bfloat16PKS0_PS0_EviT1_lT2_llT3_lli,@function
_ZL22rocblas_saxpy_2_kernelILi256Ef16rocblas_bfloat16PKS0_PS0_EviT1_lT2_llT3_lli: ; @_ZL22rocblas_saxpy_2_kernelILi256Ef16rocblas_bfloat16PKS0_PS0_EviT1_lT2_llT3_lli
; %bb.0:
	s_load_b32 s12, s[0:1], 0x40
	s_bfe_u32 s2, ttmp6, 0x40014
	s_lshr_b32 s3, ttmp7, 16
	s_add_co_i32 s2, s2, 1
	s_bfe_u32 s4, ttmp6, 0x40008
	s_mul_i32 s2, s3, s2
	s_getreg_b32 s13, hwreg(HW_REG_IB_STS2, 6, 4)
	s_add_co_i32 s4, s4, s2
	s_cmp_eq_u32 s13, 0
	s_cselect_b32 s2, s3, s4
	s_mov_b32 s3, 0
	s_wait_kmcnt 0x0
	s_cmp_ge_u32 s2, s12
	s_cbranch_scc1 .LBB125_33
; %bb.1:
	s_clause 0x3
	s_load_b128 s[4:7], s[0:1], 0x18
	s_load_b64 s[14:15], s[0:1], 0x0
	s_load_b128 s[8:11], s[0:1], 0x30
	s_load_b64 s[16:17], s[0:1], 0x10
	s_bfe_u32 s20, ttmp6, 0x4000c
	s_load_b64 s[18:19], s[0:1], 0x28
	s_add_co_i32 s20, s20, 1
	s_wait_xcnt 0x0
	s_and_b32 s0, ttmp6, 15
	s_mul_i32 s1, ttmp9, s20
	v_dual_mov_b32 v1, 0 :: v_dual_lshlrev_b32 v0, 1, v0
	s_add_co_i32 s0, s0, s1
	s_cmp_eq_u32 s13, 0
	s_cselect_b32 s0, ttmp9, s0
	s_delay_alu instid0(VALU_DEP_1) | instid1(SALU_CYCLE_1)
	v_lshl_or_b32 v0, s0, 9, v0
	s_wait_kmcnt 0x0
	s_lshl_b64 s[4:5], s[4:5], 1
	s_and_b32 s1, s15, 0x7fff
	s_lshl_b64 s[8:9], s[8:9], 1
	s_cmp_lg_u32 s1, 0
	s_add_nc_u64 s[4:5], s[16:17], s[4:5]
	s_cselect_b32 s1, -1, 0
	s_add_co_i32 s20, s14, -1
	s_lshl_b32 s13, s15, 16
	s_ashr_i32 s21, s20, 31
	s_bitcmp1_b32 s14, 0
	v_cmp_eq_u64_e32 vcc_lo, s[20:21], v[0:1]
	v_cmp_gt_i64_e64 s0, s[20:21], v[0:1]
	v_lshlrev_b64_e32 v[0:1], 1, v[0:1]
	s_cselect_b32 s14, -1, 0
	s_add_nc_u64 s[8:9], s[18:19], s[8:9]
	s_and_b32 s14, s14, vcc_lo
	s_branch .LBB125_5
.LBB125_2:                              ;   in Loop: Header=BB125_5 Depth=1
	s_or_b32 exec_lo, exec_lo, s16
	global_store_d16_hi_b16 v[2:3], v5, off
.LBB125_3:                              ;   in Loop: Header=BB125_5 Depth=1
	s_wait_xcnt 0x0
	s_or_b32 exec_lo, exec_lo, s15
.LBB125_4:                              ;   in Loop: Header=BB125_5 Depth=1
	s_add_co_i32 s2, s2, 0x10000
	s_delay_alu instid0(SALU_CYCLE_1)
	s_cmp_lt_u32 s2, s12
	s_cbranch_scc0 .LBB125_33
.LBB125_5:                              ; =>This Inner Loop Header: Depth=1
	s_and_not1_b32 vcc_lo, exec_lo, s1
	s_cbranch_vccnz .LBB125_4
; %bb.6:                                ;   in Loop: Header=BB125_5 Depth=1
	s_mul_u64 s[16:17], s[10:11], s[2:3]
	s_mul_u64 s[18:19], s[6:7], s[2:3]
	s_lshl_b64 s[16:17], s[16:17], 1
	s_lshl_b64 s[18:19], s[18:19], 1
	s_add_nc_u64 s[16:17], s[8:9], s[16:17]
	s_add_nc_u64 s[18:19], s[4:5], s[18:19]
	v_add_nc_u64_e32 v[2:3], s[16:17], v[0:1]
	v_add_nc_u64_e32 v[4:5], s[18:19], v[0:1]
	s_and_saveexec_b32 s15, s0
	s_cbranch_execz .LBB125_24
; %bb.7:                                ;   in Loop: Header=BB125_5 Depth=1
	global_load_u16 v7, v[4:5], off
	global_load_u16 v6, v[2:3], off
	s_wait_loadcnt 0x1
	v_lshlrev_b32_e32 v7, 16, v7
	s_delay_alu instid0(VALU_DEP_1) | instskip(NEXT) | instid1(VALU_DEP_1)
	v_mul_f32_e32 v7, s13, v7
	v_and_b32_e32 v8, 0x7f800000, v7
	s_delay_alu instid0(VALU_DEP_1) | instskip(SKIP_2) | instid1(SALU_CYCLE_1)
	v_cmp_ne_u32_e32 vcc_lo, 0x7f800000, v8
                                        ; implicit-def: $vgpr8
	s_wait_xcnt 0x0
	s_and_saveexec_b32 s16, vcc_lo
	s_xor_b32 s16, exec_lo, s16
; %bb.8:                                ;   in Loop: Header=BB125_5 Depth=1
	v_bfe_u32 v8, v7, 16, 1
	s_delay_alu instid0(VALU_DEP_1)
	v_add3_u32 v8, v7, v8, 0x7fff
                                        ; implicit-def: $vgpr7
; %bb.9:                                ;   in Loop: Header=BB125_5 Depth=1
	s_and_not1_saveexec_b32 s16, s16
; %bb.10:                               ;   in Loop: Header=BB125_5 Depth=1
	v_and_b32_e32 v8, 0xffff, v7
	v_or_b32_e32 v9, 0x10000, v7
	s_delay_alu instid0(VALU_DEP_2) | instskip(NEXT) | instid1(VALU_DEP_2)
	v_cmp_eq_u32_e32 vcc_lo, 0, v8
	v_cndmask_b32_e32 v8, v9, v7, vcc_lo
; %bb.11:                               ;   in Loop: Header=BB125_5 Depth=1
	s_or_b32 exec_lo, exec_lo, s16
	s_delay_alu instid0(VALU_DEP_1) | instskip(SKIP_2) | instid1(VALU_DEP_1)
	v_and_b32_e32 v7, 0xffff0000, v8
	s_wait_loadcnt 0x0
	v_lshlrev_b32_e32 v6, 16, v6
	v_add_f32_e32 v6, v6, v7
	s_delay_alu instid0(VALU_DEP_1) | instskip(NEXT) | instid1(VALU_DEP_1)
	v_and_b32_e32 v7, 0x7f800000, v6
	v_cmp_ne_u32_e32 vcc_lo, 0x7f800000, v7
                                        ; implicit-def: $vgpr7
	s_and_saveexec_b32 s16, vcc_lo
	s_delay_alu instid0(SALU_CYCLE_1)
	s_xor_b32 s16, exec_lo, s16
; %bb.12:                               ;   in Loop: Header=BB125_5 Depth=1
	v_bfe_u32 v7, v6, 16, 1
	s_delay_alu instid0(VALU_DEP_1)
	v_add3_u32 v7, v6, v7, 0x7fff
                                        ; implicit-def: $vgpr6
; %bb.13:                               ;   in Loop: Header=BB125_5 Depth=1
	s_and_not1_saveexec_b32 s16, s16
; %bb.14:                               ;   in Loop: Header=BB125_5 Depth=1
	v_and_b32_e32 v7, 0xffff, v6
	v_or_b32_e32 v8, 0x10000, v6
	s_delay_alu instid0(VALU_DEP_2) | instskip(NEXT) | instid1(VALU_DEP_2)
	v_cmp_eq_u32_e32 vcc_lo, 0, v7
	v_cndmask_b32_e32 v7, v8, v6, vcc_lo
; %bb.15:                               ;   in Loop: Header=BB125_5 Depth=1
	s_or_b32 exec_lo, exec_lo, s16
	global_load_u16 v8, v[4:5], off offset:2
	global_load_u16 v6, v[2:3], off offset:2
	s_mov_b32 s16, exec_lo
	global_store_d16_hi_b16 v[2:3], v7, off
                                        ; implicit-def: $vgpr7
	s_wait_loadcnt 0x1
	v_lshlrev_b32_e32 v8, 16, v8
	s_delay_alu instid0(VALU_DEP_1) | instskip(NEXT) | instid1(VALU_DEP_1)
	v_mul_f32_e32 v8, s13, v8
	v_and_b32_e32 v9, 0x7f800000, v8
	s_wait_xcnt 0x0
	s_delay_alu instid0(VALU_DEP_1)
	v_cmpx_ne_u32_e32 0x7f800000, v9
	s_xor_b32 s16, exec_lo, s16
; %bb.16:                               ;   in Loop: Header=BB125_5 Depth=1
	v_bfe_u32 v7, v8, 16, 1
	s_delay_alu instid0(VALU_DEP_1)
	v_add3_u32 v7, v8, v7, 0x7fff
                                        ; implicit-def: $vgpr8
; %bb.17:                               ;   in Loop: Header=BB125_5 Depth=1
	s_and_not1_saveexec_b32 s16, s16
; %bb.18:                               ;   in Loop: Header=BB125_5 Depth=1
	v_and_b32_e32 v7, 0xffff, v8
	v_or_b32_e32 v9, 0x10000, v8
	s_delay_alu instid0(VALU_DEP_2) | instskip(NEXT) | instid1(VALU_DEP_2)
	v_cmp_eq_u32_e32 vcc_lo, 0, v7
	v_cndmask_b32_e32 v7, v9, v8, vcc_lo
; %bb.19:                               ;   in Loop: Header=BB125_5 Depth=1
	s_or_b32 exec_lo, exec_lo, s16
	s_delay_alu instid0(VALU_DEP_1) | instskip(SKIP_2) | instid1(VALU_DEP_1)
	v_and_b32_e32 v7, 0xffff0000, v7
	s_wait_loadcnt 0x0
	v_lshlrev_b32_e32 v6, 16, v6
	v_add_f32_e32 v6, v6, v7
	s_delay_alu instid0(VALU_DEP_1) | instskip(NEXT) | instid1(VALU_DEP_1)
	v_and_b32_e32 v7, 0x7f800000, v6
	v_cmp_ne_u32_e32 vcc_lo, 0x7f800000, v7
                                        ; implicit-def: $vgpr7
	s_and_saveexec_b32 s16, vcc_lo
	s_delay_alu instid0(SALU_CYCLE_1)
	s_xor_b32 s16, exec_lo, s16
; %bb.20:                               ;   in Loop: Header=BB125_5 Depth=1
	v_bfe_u32 v7, v6, 16, 1
	s_delay_alu instid0(VALU_DEP_1)
	v_add3_u32 v7, v6, v7, 0x7fff
                                        ; implicit-def: $vgpr6
; %bb.21:                               ;   in Loop: Header=BB125_5 Depth=1
	s_and_not1_saveexec_b32 s16, s16
; %bb.22:                               ;   in Loop: Header=BB125_5 Depth=1
	v_and_b32_e32 v7, 0xffff, v6
	v_or_b32_e32 v8, 0x10000, v6
	s_delay_alu instid0(VALU_DEP_2) | instskip(NEXT) | instid1(VALU_DEP_2)
	v_cmp_eq_u32_e32 vcc_lo, 0, v7
	v_cndmask_b32_e32 v7, v8, v6, vcc_lo
; %bb.23:                               ;   in Loop: Header=BB125_5 Depth=1
	s_or_b32 exec_lo, exec_lo, s16
	global_store_d16_hi_b16 v[2:3], v7, off offset:2
.LBB125_24:                             ;   in Loop: Header=BB125_5 Depth=1
	s_wait_xcnt 0x0
	s_or_b32 exec_lo, exec_lo, s15
	s_and_saveexec_b32 s15, s14
	s_cbranch_execz .LBB125_3
; %bb.25:                               ;   in Loop: Header=BB125_5 Depth=1
	global_load_u16 v7, v[4:5], off
	global_load_u16 v6, v[2:3], off
	s_wait_loadcnt 0x1
	s_wait_xcnt 0x1
	v_lshlrev_b32_e32 v4, 16, v7
	s_delay_alu instid0(VALU_DEP_1) | instskip(NEXT) | instid1(VALU_DEP_1)
	v_mul_f32_e32 v4, s13, v4
	v_and_b32_e32 v5, 0x7f800000, v4
	s_delay_alu instid0(VALU_DEP_1) | instskip(SKIP_2) | instid1(SALU_CYCLE_1)
	v_cmp_ne_u32_e32 vcc_lo, 0x7f800000, v5
                                        ; implicit-def: $vgpr5
	s_wait_xcnt 0x0
	s_and_saveexec_b32 s16, vcc_lo
	s_xor_b32 s16, exec_lo, s16
; %bb.26:                               ;   in Loop: Header=BB125_5 Depth=1
	v_bfe_u32 v5, v4, 16, 1
	s_delay_alu instid0(VALU_DEP_1)
	v_add3_u32 v5, v4, v5, 0x7fff
                                        ; implicit-def: $vgpr4
; %bb.27:                               ;   in Loop: Header=BB125_5 Depth=1
	s_and_not1_saveexec_b32 s16, s16
; %bb.28:                               ;   in Loop: Header=BB125_5 Depth=1
	v_and_b32_e32 v5, 0xffff, v4
	v_or_b32_e32 v7, 0x10000, v4
	s_delay_alu instid0(VALU_DEP_2) | instskip(NEXT) | instid1(VALU_DEP_2)
	v_cmp_eq_u32_e32 vcc_lo, 0, v5
	v_cndmask_b32_e32 v5, v7, v4, vcc_lo
; %bb.29:                               ;   in Loop: Header=BB125_5 Depth=1
	s_or_b32 exec_lo, exec_lo, s16
	s_delay_alu instid0(VALU_DEP_1) | instskip(SKIP_2) | instid1(VALU_DEP_1)
	v_and_b32_e32 v4, 0xffff0000, v5
	s_wait_loadcnt 0x0
	v_lshlrev_b32_e32 v5, 16, v6
	v_add_f32_e32 v4, v5, v4
	s_delay_alu instid0(VALU_DEP_1) | instskip(NEXT) | instid1(VALU_DEP_1)
	v_and_b32_e32 v5, 0x7f800000, v4
	v_cmp_ne_u32_e32 vcc_lo, 0x7f800000, v5
                                        ; implicit-def: $vgpr5
	s_and_saveexec_b32 s16, vcc_lo
	s_delay_alu instid0(SALU_CYCLE_1)
	s_xor_b32 s16, exec_lo, s16
; %bb.30:                               ;   in Loop: Header=BB125_5 Depth=1
	v_bfe_u32 v5, v4, 16, 1
	s_delay_alu instid0(VALU_DEP_1)
	v_add3_u32 v5, v4, v5, 0x7fff
                                        ; implicit-def: $vgpr4
; %bb.31:                               ;   in Loop: Header=BB125_5 Depth=1
	s_and_not1_saveexec_b32 s16, s16
	s_cbranch_execz .LBB125_2
; %bb.32:                               ;   in Loop: Header=BB125_5 Depth=1
	v_and_b32_e32 v5, 0xffff, v4
	v_or_b32_e32 v6, 0x10000, v4
	s_delay_alu instid0(VALU_DEP_2) | instskip(NEXT) | instid1(VALU_DEP_2)
	v_cmp_eq_u32_e32 vcc_lo, 0, v5
	v_cndmask_b32_e32 v5, v6, v4, vcc_lo
	s_branch .LBB125_2
.LBB125_33:
	s_endpgm
	.section	.rodata,"a",@progbits
	.p2align	6, 0x0
	.amdhsa_kernel _ZL22rocblas_saxpy_2_kernelILi256Ef16rocblas_bfloat16PKS0_PS0_EviT1_lT2_llT3_lli
		.amdhsa_group_segment_fixed_size 0
		.amdhsa_private_segment_fixed_size 0
		.amdhsa_kernarg_size 68
		.amdhsa_user_sgpr_count 2
		.amdhsa_user_sgpr_dispatch_ptr 0
		.amdhsa_user_sgpr_queue_ptr 0
		.amdhsa_user_sgpr_kernarg_segment_ptr 1
		.amdhsa_user_sgpr_dispatch_id 0
		.amdhsa_user_sgpr_kernarg_preload_length 0
		.amdhsa_user_sgpr_kernarg_preload_offset 0
		.amdhsa_user_sgpr_private_segment_size 0
		.amdhsa_wavefront_size32 1
		.amdhsa_uses_dynamic_stack 0
		.amdhsa_enable_private_segment 0
		.amdhsa_system_sgpr_workgroup_id_x 1
		.amdhsa_system_sgpr_workgroup_id_y 0
		.amdhsa_system_sgpr_workgroup_id_z 1
		.amdhsa_system_sgpr_workgroup_info 0
		.amdhsa_system_vgpr_workitem_id 0
		.amdhsa_next_free_vgpr 10
		.amdhsa_next_free_sgpr 22
		.amdhsa_named_barrier_count 0
		.amdhsa_reserve_vcc 1
		.amdhsa_float_round_mode_32 0
		.amdhsa_float_round_mode_16_64 0
		.amdhsa_float_denorm_mode_32 3
		.amdhsa_float_denorm_mode_16_64 3
		.amdhsa_fp16_overflow 0
		.amdhsa_memory_ordered 1
		.amdhsa_forward_progress 1
		.amdhsa_inst_pref_size 9
		.amdhsa_round_robin_scheduling 0
		.amdhsa_exception_fp_ieee_invalid_op 0
		.amdhsa_exception_fp_denorm_src 0
		.amdhsa_exception_fp_ieee_div_zero 0
		.amdhsa_exception_fp_ieee_overflow 0
		.amdhsa_exception_fp_ieee_underflow 0
		.amdhsa_exception_fp_ieee_inexact 0
		.amdhsa_exception_int_div_zero 0
	.end_amdhsa_kernel
	.section	.text._ZL22rocblas_saxpy_2_kernelILi256Ef16rocblas_bfloat16PKS0_PS0_EviT1_lT2_llT3_lli,"axG",@progbits,_ZL22rocblas_saxpy_2_kernelILi256Ef16rocblas_bfloat16PKS0_PS0_EviT1_lT2_llT3_lli,comdat
.Lfunc_end125:
	.size	_ZL22rocblas_saxpy_2_kernelILi256Ef16rocblas_bfloat16PKS0_PS0_EviT1_lT2_llT3_lli, .Lfunc_end125-_ZL22rocblas_saxpy_2_kernelILi256Ef16rocblas_bfloat16PKS0_PS0_EviT1_lT2_llT3_lli
                                        ; -- End function
	.set _ZL22rocblas_saxpy_2_kernelILi256Ef16rocblas_bfloat16PKS0_PS0_EviT1_lT2_llT3_lli.num_vgpr, 10
	.set _ZL22rocblas_saxpy_2_kernelILi256Ef16rocblas_bfloat16PKS0_PS0_EviT1_lT2_llT3_lli.num_agpr, 0
	.set _ZL22rocblas_saxpy_2_kernelILi256Ef16rocblas_bfloat16PKS0_PS0_EviT1_lT2_llT3_lli.numbered_sgpr, 22
	.set _ZL22rocblas_saxpy_2_kernelILi256Ef16rocblas_bfloat16PKS0_PS0_EviT1_lT2_llT3_lli.num_named_barrier, 0
	.set _ZL22rocblas_saxpy_2_kernelILi256Ef16rocblas_bfloat16PKS0_PS0_EviT1_lT2_llT3_lli.private_seg_size, 0
	.set _ZL22rocblas_saxpy_2_kernelILi256Ef16rocblas_bfloat16PKS0_PS0_EviT1_lT2_llT3_lli.uses_vcc, 1
	.set _ZL22rocblas_saxpy_2_kernelILi256Ef16rocblas_bfloat16PKS0_PS0_EviT1_lT2_llT3_lli.uses_flat_scratch, 0
	.set _ZL22rocblas_saxpy_2_kernelILi256Ef16rocblas_bfloat16PKS0_PS0_EviT1_lT2_llT3_lli.has_dyn_sized_stack, 0
	.set _ZL22rocblas_saxpy_2_kernelILi256Ef16rocblas_bfloat16PKS0_PS0_EviT1_lT2_llT3_lli.has_recursion, 0
	.set _ZL22rocblas_saxpy_2_kernelILi256Ef16rocblas_bfloat16PKS0_PS0_EviT1_lT2_llT3_lli.has_indirect_call, 0
	.section	.AMDGPU.csdata,"",@progbits
; Kernel info:
; codeLenInByte = 1136
; TotalNumSgprs: 24
; NumVgprs: 10
; ScratchSize: 0
; MemoryBound: 0
; FloatMode: 240
; IeeeMode: 1
; LDSByteSize: 0 bytes/workgroup (compile time only)
; SGPRBlocks: 0
; VGPRBlocks: 0
; NumSGPRsForWavesPerEU: 24
; NumVGPRsForWavesPerEU: 10
; NamedBarCnt: 0
; Occupancy: 16
; WaveLimiterHint : 0
; COMPUTE_PGM_RSRC2:SCRATCH_EN: 0
; COMPUTE_PGM_RSRC2:USER_SGPR: 2
; COMPUTE_PGM_RSRC2:TRAP_HANDLER: 0
; COMPUTE_PGM_RSRC2:TGID_X_EN: 1
; COMPUTE_PGM_RSRC2:TGID_Y_EN: 0
; COMPUTE_PGM_RSRC2:TGID_Z_EN: 1
; COMPUTE_PGM_RSRC2:TIDIG_COMP_CNT: 0
	.section	.text._ZL27rocblas_axpy_kernel_batchedIiLi128ELi8EfPK16rocblas_bfloat16S2_PS0_EviT3_lT4_lT_lT5_lS6_li,"axG",@progbits,_ZL27rocblas_axpy_kernel_batchedIiLi128ELi8EfPK16rocblas_bfloat16S2_PS0_EviT3_lT4_lT_lT5_lS6_li,comdat
	.globl	_ZL27rocblas_axpy_kernel_batchedIiLi128ELi8EfPK16rocblas_bfloat16S2_PS0_EviT3_lT4_lT_lT5_lS6_li ; -- Begin function _ZL27rocblas_axpy_kernel_batchedIiLi128ELi8EfPK16rocblas_bfloat16S2_PS0_EviT3_lT4_lT_lT5_lS6_li
	.p2align	8
	.type	_ZL27rocblas_axpy_kernel_batchedIiLi128ELi8EfPK16rocblas_bfloat16S2_PS0_EviT3_lT4_lT_lT5_lS6_li,@function
_ZL27rocblas_axpy_kernel_batchedIiLi128ELi8EfPK16rocblas_bfloat16S2_PS0_EviT3_lT4_lT_lT5_lS6_li: ; @_ZL27rocblas_axpy_kernel_batchedIiLi128ELi8EfPK16rocblas_bfloat16S2_PS0_EviT3_lT4_lT_lT5_lS6_li
; %bb.0:
	s_load_b32 s4, s[0:1], 0x0
	s_bfe_u32 s2, ttmp6, 0x4000c
	s_and_b32 s3, ttmp6, 15
	s_add_co_i32 s5, s2, 1
	s_getreg_b32 s2, hwreg(HW_REG_IB_STS2, 6, 4)
	s_mul_i32 s5, ttmp9, s5
	v_and_b32_e32 v1, 0x3ff, v0
	s_add_co_i32 s3, s3, s5
	v_mov_b32_e32 v3, 0
	s_wait_kmcnt 0x0
	s_ashr_i32 s5, s4, 31
	s_cmp_eq_u32 s2, 0
	s_cselect_b32 s3, ttmp9, s3
	s_delay_alu instid0(SALU_CYCLE_1) | instskip(SKIP_1) | instid1(VALU_DEP_1)
	v_lshl_add_u32 v2, s3, 7, v1
	s_mov_b32 s3, exec_lo
	v_cmpx_gt_i64_e64 s[4:5], v[2:3]
	s_cbranch_execz .LBB126_47
; %bb.1:
	s_load_b32 s16, s[0:1], 0x58
	s_bfe_u32 s3, ttmp6, 0x40014
	v_lshrrev_b32_e32 v0, 8, v0
	s_lshr_b32 s4, ttmp7, 16
	s_add_co_i32 s3, s3, 1
	s_bfe_u32 s5, ttmp6, 0x40008
	s_mul_i32 s3, s4, s3
	v_and_b32_e32 v0, 0xffc, v0
	s_add_co_i32 s5, s5, s3
	s_cmp_eq_u32 s2, 0
	s_cselect_b32 s2, s4, s5
	s_delay_alu instid0(VALU_DEP_1) | instid1(SALU_CYCLE_1)
	v_lshl_add_u32 v0, s2, 5, v0
	s_wait_kmcnt 0x0
	s_delay_alu instid0(VALU_DEP_1)
	v_cmp_gt_u32_e32 vcc_lo, s16, v0
	s_and_b32 exec_lo, exec_lo, vcc_lo
	s_cbranch_execz .LBB126_47
; %bb.2:
	s_clause 0x4
	s_load_b32 s4, s[0:1], 0x28
	s_load_b96 s[20:22], s[0:1], 0x40
	s_load_b128 s[12:15], s[0:1], 0x30
	s_load_b64 s[2:3], s[0:1], 0x50
	s_load_b32 s17, s[0:1], 0x68
	v_mov_b32_e32 v1, 0
	s_wait_kmcnt 0x0
	s_ashr_i32 s5, s4, 31
	s_ashr_i32 s7, s22, 31
	s_mov_b32 s6, s22
	v_mul_u64_e32 v[4:5], s[4:5], v[2:3]
	v_mul_u64_e32 v[6:7], s[6:7], v[2:3]
	s_load_b256 s[4:11], s[0:1], 0x8
	s_wait_kmcnt 0x0
	s_lshl_b64 s[0:1], s[10:11], 1
	s_lshl_b64 s[10:11], s[20:21], 1
	s_add_nc_u64 s[0:1], s[8:9], s[0:1]
	s_add_nc_u64 s[8:9], s[14:15], s[10:11]
	s_delay_alu instid0(VALU_DEP_2) | instskip(NEXT) | instid1(VALU_DEP_2)
	v_lshl_add_u64 v[2:3], v[4:5], 1, s[0:1]
	v_lshl_add_u64 v[4:5], v[6:7], 1, s[8:9]
	s_lshl_b32 s0, s17, 5
	s_mov_b32 s1, 0
	s_branch .LBB126_5
.LBB126_3:                              ;   in Loop: Header=BB126_5 Depth=1
	s_or_b32 exec_lo, exec_lo, s9
	global_store_d16_hi_b16 v[6:7], v9, off
.LBB126_4:                              ;   in Loop: Header=BB126_5 Depth=1
	s_wait_xcnt 0x0
	s_or_b32 exec_lo, exec_lo, s8
	v_add_nc_u32_e32 v0, s0, v0
	s_delay_alu instid0(VALU_DEP_1) | instskip(SKIP_1) | instid1(SALU_CYCLE_1)
	v_cmp_le_u32_e32 vcc_lo, s16, v0
	s_or_b32 s1, vcc_lo, s1
	s_and_not1_b32 exec_lo, exec_lo, s1
	s_cbranch_execz .LBB126_47
.LBB126_5:                              ; =>This Inner Loop Header: Depth=1
	v_mul_u64_e32 v[6:7], s[6:7], v[0:1]
	s_mov_b32 s8, exec_lo
	s_delay_alu instid0(VALU_DEP_1) | instskip(SKIP_4) | instid1(VALU_DEP_1)
	v_lshl_add_u64 v[6:7], v[6:7], 1, s[4:5]
	global_load_u16 v9, v[6:7], off
	s_wait_loadcnt 0x0
	s_wait_xcnt 0x0
	v_and_b32_e32 v6, 0x7fff, v9
	v_cmpx_ne_u16_e32 0, v6
	s_cbranch_execz .LBB126_15
; %bb.6:                                ;   in Loop: Header=BB126_5 Depth=1
	v_mul_u64_e32 v[6:7], s[12:13], v[0:1]
	v_mul_u64_e32 v[10:11], s[2:3], v[0:1]
	v_lshlrev_b32_e32 v9, 16, v9
	s_delay_alu instid0(VALU_DEP_3)
	v_lshl_add_u64 v[6:7], v[6:7], 1, v[2:3]
	global_load_u16 v12, v[6:7], off
	s_wait_xcnt 0x0
	v_lshl_add_u64 v[6:7], v[10:11], 1, v[4:5]
	global_load_u16 v8, v[6:7], off
	s_wait_loadcnt 0x1
	v_lshlrev_b32_e32 v10, 16, v12
	s_delay_alu instid0(VALU_DEP_1) | instskip(NEXT) | instid1(VALU_DEP_1)
	v_mul_f32_e32 v9, v10, v9
	v_and_b32_e32 v10, 0x7f800000, v9
	s_delay_alu instid0(VALU_DEP_1) | instskip(SKIP_2) | instid1(SALU_CYCLE_1)
	v_cmp_ne_u32_e32 vcc_lo, 0x7f800000, v10
                                        ; implicit-def: $vgpr10
	s_wait_xcnt 0x0
	s_and_saveexec_b32 s9, vcc_lo
	s_xor_b32 s9, exec_lo, s9
; %bb.7:                                ;   in Loop: Header=BB126_5 Depth=1
	v_bfe_u32 v10, v9, 16, 1
	s_delay_alu instid0(VALU_DEP_1)
	v_add3_u32 v10, v9, v10, 0x7fff
                                        ; implicit-def: $vgpr9
; %bb.8:                                ;   in Loop: Header=BB126_5 Depth=1
	s_and_not1_saveexec_b32 s9, s9
; %bb.9:                                ;   in Loop: Header=BB126_5 Depth=1
	v_and_b32_e32 v10, 0xffff, v9
	v_or_b32_e32 v11, 0x10000, v9
	s_delay_alu instid0(VALU_DEP_2) | instskip(NEXT) | instid1(VALU_DEP_2)
	v_cmp_eq_u32_e32 vcc_lo, 0, v10
	v_cndmask_b32_e32 v10, v11, v9, vcc_lo
; %bb.10:                               ;   in Loop: Header=BB126_5 Depth=1
	s_or_b32 exec_lo, exec_lo, s9
	s_delay_alu instid0(VALU_DEP_1) | instskip(SKIP_2) | instid1(VALU_DEP_1)
	v_and_b32_e32 v9, 0xffff0000, v10
	s_wait_loadcnt 0x0
	v_lshlrev_b32_e32 v8, 16, v8
	v_add_f32_e32 v8, v8, v9
	s_delay_alu instid0(VALU_DEP_1) | instskip(NEXT) | instid1(VALU_DEP_1)
	v_and_b32_e32 v9, 0x7f800000, v8
	v_cmp_ne_u32_e32 vcc_lo, 0x7f800000, v9
                                        ; implicit-def: $vgpr9
	s_and_saveexec_b32 s9, vcc_lo
	s_delay_alu instid0(SALU_CYCLE_1)
	s_xor_b32 s9, exec_lo, s9
; %bb.11:                               ;   in Loop: Header=BB126_5 Depth=1
	v_bfe_u32 v9, v8, 16, 1
	s_delay_alu instid0(VALU_DEP_1)
	v_add3_u32 v9, v8, v9, 0x7fff
                                        ; implicit-def: $vgpr8
; %bb.12:                               ;   in Loop: Header=BB126_5 Depth=1
	s_and_not1_saveexec_b32 s9, s9
; %bb.13:                               ;   in Loop: Header=BB126_5 Depth=1
	v_and_b32_e32 v9, 0xffff, v8
	v_or_b32_e32 v10, 0x10000, v8
	s_delay_alu instid0(VALU_DEP_2) | instskip(NEXT) | instid1(VALU_DEP_2)
	v_cmp_eq_u32_e32 vcc_lo, 0, v9
	v_cndmask_b32_e32 v9, v10, v8, vcc_lo
; %bb.14:                               ;   in Loop: Header=BB126_5 Depth=1
	s_or_b32 exec_lo, exec_lo, s9
	global_store_d16_hi_b16 v[6:7], v9, off
.LBB126_15:                             ;   in Loop: Header=BB126_5 Depth=1
	s_wait_xcnt 0x0
	s_or_b32 exec_lo, exec_lo, s8
	v_add_nc_u32_e32 v6, 1, v0
	s_mov_b32 s8, exec_lo
	s_delay_alu instid0(VALU_DEP_1)
	v_cmpx_gt_u32_e64 s16, v6
	s_cbranch_execz .LBB126_26
; %bb.16:                               ;   in Loop: Header=BB126_5 Depth=1
	v_mov_b32_e32 v7, v1
	s_delay_alu instid0(VALU_DEP_1) | instskip(NEXT) | instid1(VALU_DEP_1)
	v_mul_u64_e32 v[8:9], s[6:7], v[6:7]
	v_lshl_add_u64 v[8:9], v[8:9], 1, s[4:5]
	global_load_u16 v9, v[8:9], off
	s_wait_loadcnt 0x0
	v_and_b32_e32 v8, 0x7fff, v9
	s_delay_alu instid0(VALU_DEP_1)
	v_cmp_ne_u16_e32 vcc_lo, 0, v8
	s_and_b32 exec_lo, exec_lo, vcc_lo
	s_cbranch_execz .LBB126_26
; %bb.17:                               ;   in Loop: Header=BB126_5 Depth=1
	v_mul_u64_e32 v[10:11], s[12:13], v[6:7]
	v_mul_u64_e32 v[6:7], s[2:3], v[6:7]
	v_lshlrev_b32_e32 v9, 16, v9
	s_delay_alu instid0(VALU_DEP_3) | instskip(NEXT) | instid1(VALU_DEP_3)
	v_lshl_add_u64 v[10:11], v[10:11], 1, v[2:3]
	v_lshl_add_u64 v[6:7], v[6:7], 1, v[4:5]
	global_load_u16 v10, v[10:11], off
	global_load_u16 v8, v[6:7], off
	s_wait_loadcnt 0x1
	s_wait_xcnt 0x1
	v_lshlrev_b32_e32 v10, 16, v10
	s_delay_alu instid0(VALU_DEP_1) | instskip(NEXT) | instid1(VALU_DEP_1)
	v_mul_f32_e32 v9, v10, v9
	v_and_b32_e32 v10, 0x7f800000, v9
	s_delay_alu instid0(VALU_DEP_1) | instskip(SKIP_2) | instid1(SALU_CYCLE_1)
	v_cmp_ne_u32_e32 vcc_lo, 0x7f800000, v10
                                        ; implicit-def: $vgpr10
	s_wait_xcnt 0x0
	s_and_saveexec_b32 s9, vcc_lo
	s_xor_b32 s9, exec_lo, s9
; %bb.18:                               ;   in Loop: Header=BB126_5 Depth=1
	v_bfe_u32 v10, v9, 16, 1
	s_delay_alu instid0(VALU_DEP_1)
	v_add3_u32 v10, v9, v10, 0x7fff
                                        ; implicit-def: $vgpr9
; %bb.19:                               ;   in Loop: Header=BB126_5 Depth=1
	s_and_not1_saveexec_b32 s9, s9
; %bb.20:                               ;   in Loop: Header=BB126_5 Depth=1
	v_and_b32_e32 v10, 0xffff, v9
	v_or_b32_e32 v11, 0x10000, v9
	s_delay_alu instid0(VALU_DEP_2) | instskip(NEXT) | instid1(VALU_DEP_2)
	v_cmp_eq_u32_e32 vcc_lo, 0, v10
	v_cndmask_b32_e32 v10, v11, v9, vcc_lo
; %bb.21:                               ;   in Loop: Header=BB126_5 Depth=1
	s_or_b32 exec_lo, exec_lo, s9
	s_delay_alu instid0(VALU_DEP_1) | instskip(SKIP_2) | instid1(VALU_DEP_1)
	v_and_b32_e32 v9, 0xffff0000, v10
	s_wait_loadcnt 0x0
	v_lshlrev_b32_e32 v8, 16, v8
	v_add_f32_e32 v8, v8, v9
	s_delay_alu instid0(VALU_DEP_1) | instskip(NEXT) | instid1(VALU_DEP_1)
	v_and_b32_e32 v9, 0x7f800000, v8
	v_cmp_ne_u32_e32 vcc_lo, 0x7f800000, v9
                                        ; implicit-def: $vgpr9
	s_and_saveexec_b32 s9, vcc_lo
	s_delay_alu instid0(SALU_CYCLE_1)
	s_xor_b32 s9, exec_lo, s9
; %bb.22:                               ;   in Loop: Header=BB126_5 Depth=1
	v_bfe_u32 v9, v8, 16, 1
	s_delay_alu instid0(VALU_DEP_1)
	v_add3_u32 v9, v8, v9, 0x7fff
                                        ; implicit-def: $vgpr8
; %bb.23:                               ;   in Loop: Header=BB126_5 Depth=1
	s_and_not1_saveexec_b32 s9, s9
; %bb.24:                               ;   in Loop: Header=BB126_5 Depth=1
	v_and_b32_e32 v9, 0xffff, v8
	v_or_b32_e32 v10, 0x10000, v8
	s_delay_alu instid0(VALU_DEP_2) | instskip(NEXT) | instid1(VALU_DEP_2)
	v_cmp_eq_u32_e32 vcc_lo, 0, v9
	v_cndmask_b32_e32 v9, v10, v8, vcc_lo
; %bb.25:                               ;   in Loop: Header=BB126_5 Depth=1
	s_or_b32 exec_lo, exec_lo, s9
	global_store_d16_hi_b16 v[6:7], v9, off
.LBB126_26:                             ;   in Loop: Header=BB126_5 Depth=1
	s_wait_xcnt 0x0
	s_or_b32 exec_lo, exec_lo, s8
	v_add_nc_u32_e32 v6, 2, v0
	s_mov_b32 s8, exec_lo
	s_delay_alu instid0(VALU_DEP_1)
	v_cmpx_gt_u32_e64 s16, v6
	s_cbranch_execz .LBB126_37
; %bb.27:                               ;   in Loop: Header=BB126_5 Depth=1
	v_mov_b32_e32 v7, v1
	s_delay_alu instid0(VALU_DEP_1) | instskip(NEXT) | instid1(VALU_DEP_1)
	v_mul_u64_e32 v[8:9], s[6:7], v[6:7]
	v_lshl_add_u64 v[8:9], v[8:9], 1, s[4:5]
	global_load_u16 v9, v[8:9], off
	s_wait_loadcnt 0x0
	v_and_b32_e32 v8, 0x7fff, v9
	s_delay_alu instid0(VALU_DEP_1)
	v_cmp_ne_u16_e32 vcc_lo, 0, v8
	s_and_b32 exec_lo, exec_lo, vcc_lo
	s_cbranch_execz .LBB126_37
; %bb.28:                               ;   in Loop: Header=BB126_5 Depth=1
	v_mul_u64_e32 v[10:11], s[12:13], v[6:7]
	v_mul_u64_e32 v[6:7], s[2:3], v[6:7]
	v_lshlrev_b32_e32 v9, 16, v9
	s_delay_alu instid0(VALU_DEP_3) | instskip(NEXT) | instid1(VALU_DEP_3)
	v_lshl_add_u64 v[10:11], v[10:11], 1, v[2:3]
	v_lshl_add_u64 v[6:7], v[6:7], 1, v[4:5]
	global_load_u16 v10, v[10:11], off
	global_load_u16 v8, v[6:7], off
	s_wait_loadcnt 0x1
	s_wait_xcnt 0x1
	v_lshlrev_b32_e32 v10, 16, v10
	s_delay_alu instid0(VALU_DEP_1) | instskip(NEXT) | instid1(VALU_DEP_1)
	v_mul_f32_e32 v9, v10, v9
	v_and_b32_e32 v10, 0x7f800000, v9
	s_delay_alu instid0(VALU_DEP_1) | instskip(SKIP_2) | instid1(SALU_CYCLE_1)
	v_cmp_ne_u32_e32 vcc_lo, 0x7f800000, v10
                                        ; implicit-def: $vgpr10
	s_wait_xcnt 0x0
	s_and_saveexec_b32 s9, vcc_lo
	s_xor_b32 s9, exec_lo, s9
; %bb.29:                               ;   in Loop: Header=BB126_5 Depth=1
	v_bfe_u32 v10, v9, 16, 1
	s_delay_alu instid0(VALU_DEP_1)
	v_add3_u32 v10, v9, v10, 0x7fff
                                        ; implicit-def: $vgpr9
; %bb.30:                               ;   in Loop: Header=BB126_5 Depth=1
	s_and_not1_saveexec_b32 s9, s9
; %bb.31:                               ;   in Loop: Header=BB126_5 Depth=1
	v_and_b32_e32 v10, 0xffff, v9
	v_or_b32_e32 v11, 0x10000, v9
	s_delay_alu instid0(VALU_DEP_2) | instskip(NEXT) | instid1(VALU_DEP_2)
	v_cmp_eq_u32_e32 vcc_lo, 0, v10
	v_cndmask_b32_e32 v10, v11, v9, vcc_lo
; %bb.32:                               ;   in Loop: Header=BB126_5 Depth=1
	s_or_b32 exec_lo, exec_lo, s9
	s_delay_alu instid0(VALU_DEP_1) | instskip(SKIP_2) | instid1(VALU_DEP_1)
	v_and_b32_e32 v9, 0xffff0000, v10
	s_wait_loadcnt 0x0
	v_lshlrev_b32_e32 v8, 16, v8
	v_add_f32_e32 v8, v8, v9
	s_delay_alu instid0(VALU_DEP_1) | instskip(NEXT) | instid1(VALU_DEP_1)
	v_and_b32_e32 v9, 0x7f800000, v8
	v_cmp_ne_u32_e32 vcc_lo, 0x7f800000, v9
                                        ; implicit-def: $vgpr9
	s_and_saveexec_b32 s9, vcc_lo
	s_delay_alu instid0(SALU_CYCLE_1)
	s_xor_b32 s9, exec_lo, s9
; %bb.33:                               ;   in Loop: Header=BB126_5 Depth=1
	v_bfe_u32 v9, v8, 16, 1
	s_delay_alu instid0(VALU_DEP_1)
	v_add3_u32 v9, v8, v9, 0x7fff
                                        ; implicit-def: $vgpr8
; %bb.34:                               ;   in Loop: Header=BB126_5 Depth=1
	s_and_not1_saveexec_b32 s9, s9
; %bb.35:                               ;   in Loop: Header=BB126_5 Depth=1
	v_and_b32_e32 v9, 0xffff, v8
	v_or_b32_e32 v10, 0x10000, v8
	s_delay_alu instid0(VALU_DEP_2) | instskip(NEXT) | instid1(VALU_DEP_2)
	v_cmp_eq_u32_e32 vcc_lo, 0, v9
	v_cndmask_b32_e32 v9, v10, v8, vcc_lo
; %bb.36:                               ;   in Loop: Header=BB126_5 Depth=1
	s_or_b32 exec_lo, exec_lo, s9
	global_store_d16_hi_b16 v[6:7], v9, off
.LBB126_37:                             ;   in Loop: Header=BB126_5 Depth=1
	s_wait_xcnt 0x0
	s_or_b32 exec_lo, exec_lo, s8
	v_add_nc_u32_e32 v6, 3, v0
	s_mov_b32 s8, exec_lo
	s_delay_alu instid0(VALU_DEP_1)
	v_cmpx_gt_u32_e64 s16, v6
	s_cbranch_execz .LBB126_4
; %bb.38:                               ;   in Loop: Header=BB126_5 Depth=1
	v_mov_b32_e32 v7, v1
	s_delay_alu instid0(VALU_DEP_1) | instskip(NEXT) | instid1(VALU_DEP_1)
	v_mul_u64_e32 v[8:9], s[6:7], v[6:7]
	v_lshl_add_u64 v[8:9], v[8:9], 1, s[4:5]
	global_load_u16 v9, v[8:9], off
	s_wait_loadcnt 0x0
	v_and_b32_e32 v8, 0x7fff, v9
	s_delay_alu instid0(VALU_DEP_1)
	v_cmp_ne_u16_e32 vcc_lo, 0, v8
	s_and_b32 exec_lo, exec_lo, vcc_lo
	s_cbranch_execz .LBB126_4
; %bb.39:                               ;   in Loop: Header=BB126_5 Depth=1
	v_mul_u64_e32 v[10:11], s[12:13], v[6:7]
	v_mul_u64_e32 v[6:7], s[2:3], v[6:7]
	v_lshlrev_b32_e32 v9, 16, v9
	s_delay_alu instid0(VALU_DEP_3) | instskip(NEXT) | instid1(VALU_DEP_3)
	v_lshl_add_u64 v[10:11], v[10:11], 1, v[2:3]
	v_lshl_add_u64 v[6:7], v[6:7], 1, v[4:5]
	global_load_u16 v10, v[10:11], off
	global_load_u16 v8, v[6:7], off
	s_wait_loadcnt 0x1
	s_wait_xcnt 0x1
	v_lshlrev_b32_e32 v10, 16, v10
	s_delay_alu instid0(VALU_DEP_1) | instskip(NEXT) | instid1(VALU_DEP_1)
	v_mul_f32_e32 v9, v10, v9
	v_and_b32_e32 v10, 0x7f800000, v9
	s_delay_alu instid0(VALU_DEP_1) | instskip(SKIP_2) | instid1(SALU_CYCLE_1)
	v_cmp_ne_u32_e32 vcc_lo, 0x7f800000, v10
                                        ; implicit-def: $vgpr10
	s_wait_xcnt 0x0
	s_and_saveexec_b32 s9, vcc_lo
	s_xor_b32 s9, exec_lo, s9
; %bb.40:                               ;   in Loop: Header=BB126_5 Depth=1
	v_bfe_u32 v10, v9, 16, 1
	s_delay_alu instid0(VALU_DEP_1)
	v_add3_u32 v10, v9, v10, 0x7fff
                                        ; implicit-def: $vgpr9
; %bb.41:                               ;   in Loop: Header=BB126_5 Depth=1
	s_and_not1_saveexec_b32 s9, s9
; %bb.42:                               ;   in Loop: Header=BB126_5 Depth=1
	v_and_b32_e32 v10, 0xffff, v9
	v_or_b32_e32 v11, 0x10000, v9
	s_delay_alu instid0(VALU_DEP_2) | instskip(NEXT) | instid1(VALU_DEP_2)
	v_cmp_eq_u32_e32 vcc_lo, 0, v10
	v_cndmask_b32_e32 v10, v11, v9, vcc_lo
; %bb.43:                               ;   in Loop: Header=BB126_5 Depth=1
	s_or_b32 exec_lo, exec_lo, s9
	s_delay_alu instid0(VALU_DEP_1) | instskip(SKIP_2) | instid1(VALU_DEP_1)
	v_and_b32_e32 v9, 0xffff0000, v10
	s_wait_loadcnt 0x0
	v_lshlrev_b32_e32 v8, 16, v8
	v_add_f32_e32 v8, v8, v9
	s_delay_alu instid0(VALU_DEP_1) | instskip(NEXT) | instid1(VALU_DEP_1)
	v_and_b32_e32 v9, 0x7f800000, v8
	v_cmp_ne_u32_e32 vcc_lo, 0x7f800000, v9
                                        ; implicit-def: $vgpr9
	s_and_saveexec_b32 s9, vcc_lo
	s_delay_alu instid0(SALU_CYCLE_1)
	s_xor_b32 s9, exec_lo, s9
; %bb.44:                               ;   in Loop: Header=BB126_5 Depth=1
	v_bfe_u32 v9, v8, 16, 1
	s_delay_alu instid0(VALU_DEP_1)
	v_add3_u32 v9, v8, v9, 0x7fff
                                        ; implicit-def: $vgpr8
; %bb.45:                               ;   in Loop: Header=BB126_5 Depth=1
	s_and_not1_saveexec_b32 s9, s9
	s_cbranch_execz .LBB126_3
; %bb.46:                               ;   in Loop: Header=BB126_5 Depth=1
	v_and_b32_e32 v9, 0xffff, v8
	v_or_b32_e32 v10, 0x10000, v8
	s_delay_alu instid0(VALU_DEP_2) | instskip(NEXT) | instid1(VALU_DEP_2)
	v_cmp_eq_u32_e32 vcc_lo, 0, v9
	v_cndmask_b32_e32 v9, v10, v8, vcc_lo
	s_branch .LBB126_3
.LBB126_47:
	s_endpgm
	.section	.rodata,"a",@progbits
	.p2align	6, 0x0
	.amdhsa_kernel _ZL27rocblas_axpy_kernel_batchedIiLi128ELi8EfPK16rocblas_bfloat16S2_PS0_EviT3_lT4_lT_lT5_lS6_li
		.amdhsa_group_segment_fixed_size 0
		.amdhsa_private_segment_fixed_size 0
		.amdhsa_kernarg_size 352
		.amdhsa_user_sgpr_count 2
		.amdhsa_user_sgpr_dispatch_ptr 0
		.amdhsa_user_sgpr_queue_ptr 0
		.amdhsa_user_sgpr_kernarg_segment_ptr 1
		.amdhsa_user_sgpr_dispatch_id 0
		.amdhsa_user_sgpr_kernarg_preload_length 0
		.amdhsa_user_sgpr_kernarg_preload_offset 0
		.amdhsa_user_sgpr_private_segment_size 0
		.amdhsa_wavefront_size32 1
		.amdhsa_uses_dynamic_stack 0
		.amdhsa_enable_private_segment 0
		.amdhsa_system_sgpr_workgroup_id_x 1
		.amdhsa_system_sgpr_workgroup_id_y 0
		.amdhsa_system_sgpr_workgroup_id_z 1
		.amdhsa_system_sgpr_workgroup_info 0
		.amdhsa_system_vgpr_workitem_id 1
		.amdhsa_next_free_vgpr 13
		.amdhsa_next_free_sgpr 23
		.amdhsa_named_barrier_count 0
		.amdhsa_reserve_vcc 1
		.amdhsa_float_round_mode_32 0
		.amdhsa_float_round_mode_16_64 0
		.amdhsa_float_denorm_mode_32 3
		.amdhsa_float_denorm_mode_16_64 3
		.amdhsa_fp16_overflow 0
		.amdhsa_memory_ordered 1
		.amdhsa_forward_progress 1
		.amdhsa_inst_pref_size 15
		.amdhsa_round_robin_scheduling 0
		.amdhsa_exception_fp_ieee_invalid_op 0
		.amdhsa_exception_fp_denorm_src 0
		.amdhsa_exception_fp_ieee_div_zero 0
		.amdhsa_exception_fp_ieee_overflow 0
		.amdhsa_exception_fp_ieee_underflow 0
		.amdhsa_exception_fp_ieee_inexact 0
		.amdhsa_exception_int_div_zero 0
	.end_amdhsa_kernel
	.section	.text._ZL27rocblas_axpy_kernel_batchedIiLi128ELi8EfPK16rocblas_bfloat16S2_PS0_EviT3_lT4_lT_lT5_lS6_li,"axG",@progbits,_ZL27rocblas_axpy_kernel_batchedIiLi128ELi8EfPK16rocblas_bfloat16S2_PS0_EviT3_lT4_lT_lT5_lS6_li,comdat
.Lfunc_end126:
	.size	_ZL27rocblas_axpy_kernel_batchedIiLi128ELi8EfPK16rocblas_bfloat16S2_PS0_EviT3_lT4_lT_lT5_lS6_li, .Lfunc_end126-_ZL27rocblas_axpy_kernel_batchedIiLi128ELi8EfPK16rocblas_bfloat16S2_PS0_EviT3_lT4_lT_lT5_lS6_li
                                        ; -- End function
	.set _ZL27rocblas_axpy_kernel_batchedIiLi128ELi8EfPK16rocblas_bfloat16S2_PS0_EviT3_lT4_lT_lT5_lS6_li.num_vgpr, 13
	.set _ZL27rocblas_axpy_kernel_batchedIiLi128ELi8EfPK16rocblas_bfloat16S2_PS0_EviT3_lT4_lT_lT5_lS6_li.num_agpr, 0
	.set _ZL27rocblas_axpy_kernel_batchedIiLi128ELi8EfPK16rocblas_bfloat16S2_PS0_EviT3_lT4_lT_lT5_lS6_li.numbered_sgpr, 23
	.set _ZL27rocblas_axpy_kernel_batchedIiLi128ELi8EfPK16rocblas_bfloat16S2_PS0_EviT3_lT4_lT_lT5_lS6_li.num_named_barrier, 0
	.set _ZL27rocblas_axpy_kernel_batchedIiLi128ELi8EfPK16rocblas_bfloat16S2_PS0_EviT3_lT4_lT_lT5_lS6_li.private_seg_size, 0
	.set _ZL27rocblas_axpy_kernel_batchedIiLi128ELi8EfPK16rocblas_bfloat16S2_PS0_EviT3_lT4_lT_lT5_lS6_li.uses_vcc, 1
	.set _ZL27rocblas_axpy_kernel_batchedIiLi128ELi8EfPK16rocblas_bfloat16S2_PS0_EviT3_lT4_lT_lT5_lS6_li.uses_flat_scratch, 0
	.set _ZL27rocblas_axpy_kernel_batchedIiLi128ELi8EfPK16rocblas_bfloat16S2_PS0_EviT3_lT4_lT_lT5_lS6_li.has_dyn_sized_stack, 0
	.set _ZL27rocblas_axpy_kernel_batchedIiLi128ELi8EfPK16rocblas_bfloat16S2_PS0_EviT3_lT4_lT_lT5_lS6_li.has_recursion, 0
	.set _ZL27rocblas_axpy_kernel_batchedIiLi128ELi8EfPK16rocblas_bfloat16S2_PS0_EviT3_lT4_lT_lT5_lS6_li.has_indirect_call, 0
	.section	.AMDGPU.csdata,"",@progbits
; Kernel info:
; codeLenInByte = 1876
; TotalNumSgprs: 25
; NumVgprs: 13
; ScratchSize: 0
; MemoryBound: 0
; FloatMode: 240
; IeeeMode: 1
; LDSByteSize: 0 bytes/workgroup (compile time only)
; SGPRBlocks: 0
; VGPRBlocks: 0
; NumSGPRsForWavesPerEU: 25
; NumVGPRsForWavesPerEU: 13
; NamedBarCnt: 0
; Occupancy: 16
; WaveLimiterHint : 0
; COMPUTE_PGM_RSRC2:SCRATCH_EN: 0
; COMPUTE_PGM_RSRC2:USER_SGPR: 2
; COMPUTE_PGM_RSRC2:TRAP_HANDLER: 0
; COMPUTE_PGM_RSRC2:TGID_X_EN: 1
; COMPUTE_PGM_RSRC2:TGID_Y_EN: 0
; COMPUTE_PGM_RSRC2:TGID_Z_EN: 1
; COMPUTE_PGM_RSRC2:TIDIG_COMP_CNT: 1
	.section	.text._ZL27rocblas_axpy_kernel_batchedIiLi128ELi8Ef16rocblas_bfloat16PKS0_PS0_EviT3_lT4_lT_lT5_lS6_li,"axG",@progbits,_ZL27rocblas_axpy_kernel_batchedIiLi128ELi8Ef16rocblas_bfloat16PKS0_PS0_EviT3_lT4_lT_lT5_lS6_li,comdat
	.globl	_ZL27rocblas_axpy_kernel_batchedIiLi128ELi8Ef16rocblas_bfloat16PKS0_PS0_EviT3_lT4_lT_lT5_lS6_li ; -- Begin function _ZL27rocblas_axpy_kernel_batchedIiLi128ELi8Ef16rocblas_bfloat16PKS0_PS0_EviT3_lT4_lT_lT5_lS6_li
	.p2align	8
	.type	_ZL27rocblas_axpy_kernel_batchedIiLi128ELi8Ef16rocblas_bfloat16PKS0_PS0_EviT3_lT4_lT_lT5_lS6_li,@function
_ZL27rocblas_axpy_kernel_batchedIiLi128ELi8Ef16rocblas_bfloat16PKS0_PS0_EviT3_lT4_lT_lT5_lS6_li: ; @_ZL27rocblas_axpy_kernel_batchedIiLi128ELi8Ef16rocblas_bfloat16PKS0_PS0_EviT3_lT4_lT_lT5_lS6_li
; %bb.0:
	s_load_b64 s[8:9], s[0:1], 0x0
	s_bfe_u32 s2, ttmp6, 0x4000c
	s_and_b32 s3, ttmp6, 15
	s_add_co_i32 s4, s2, 1
	s_getreg_b32 s2, hwreg(HW_REG_IB_STS2, 6, 4)
	s_mul_i32 s4, ttmp9, s4
	v_and_b32_e32 v1, 0x3ff, v0
	s_add_co_i32 s3, s3, s4
	s_cmp_eq_u32 s2, 0
	v_mov_b32_e32 v3, 0
	s_cselect_b32 s3, ttmp9, s3
	s_delay_alu instid0(SALU_CYCLE_1) | instskip(SKIP_4) | instid1(SALU_CYCLE_1)
	v_lshl_add_u32 v2, s3, 7, v1
	s_mov_b32 s3, exec_lo
	s_wait_kmcnt 0x0
	s_ashr_i32 s5, s8, 31
	s_mov_b32 s4, s8
	v_cmpx_gt_i64_e64 s[4:5], v[2:3]
	s_cbranch_execz .LBB127_44
; %bb.1:
	s_load_b32 s8, s[0:1], 0x50
	s_bfe_u32 s3, ttmp6, 0x40014
	v_lshrrev_b32_e32 v0, 8, v0
	s_lshr_b32 s4, ttmp7, 16
	s_add_co_i32 s3, s3, 1
	s_bfe_u32 s5, ttmp6, 0x40008
	s_mul_i32 s3, s4, s3
	v_and_b32_e32 v0, 0xffc, v0
	s_add_co_i32 s5, s5, s3
	s_cmp_eq_u32 s2, 0
	s_cselect_b32 s2, s4, s5
	s_delay_alu instid0(VALU_DEP_1) | instid1(SALU_CYCLE_1)
	v_lshl_add_u32 v0, s2, 5, v0
	s_wait_kmcnt 0x0
	s_delay_alu instid0(VALU_DEP_1)
	v_cmp_gt_u32_e32 vcc_lo, s8, v0
	s_and_b32 exec_lo, exec_lo, vcc_lo
	s_cbranch_execz .LBB127_44
; %bb.2:
	s_clause 0x1
	s_load_b32 s2, s[0:1], 0x20
	s_load_b96 s[16:18], s[0:1], 0x38
	v_mov_b32_e32 v1, 0
	s_wait_kmcnt 0x0
	s_ashr_i32 s3, s2, 31
	s_ashr_i32 s5, s18, 31
	s_mov_b32 s4, s18
	v_mul_u64_e32 v[4:5], s[2:3], v[2:3]
	v_mul_u64_e32 v[6:7], s[4:5], v[2:3]
	s_clause 0x3
	s_load_b128 s[12:15], s[0:1], 0x10
	s_load_b128 s[4:7], s[0:1], 0x28
	s_load_b32 s18, s[0:1], 0x60
	s_load_b64 s[2:3], s[0:1], 0x48
	s_wait_xcnt 0x0
	s_and_b32 s0, s9, 0x7fff
	s_mov_b32 s1, 0
	s_cmp_lg_u32 s0, 0
	s_cselect_b32 s0, -1, 0
	s_wait_kmcnt 0x0
	s_lshl_b64 s[10:11], s[14:15], 1
	s_lshl_b64 s[14:15], s[16:17], 1
	s_add_nc_u64 s[10:11], s[12:13], s[10:11]
	s_add_nc_u64 s[6:7], s[6:7], s[14:15]
	s_delay_alu instid0(VALU_DEP_2) | instskip(NEXT) | instid1(VALU_DEP_2)
	v_lshl_add_u64 v[2:3], v[4:5], 1, s[10:11]
	v_lshl_add_u64 v[4:5], v[6:7], 1, s[6:7]
	s_lshl_b32 s6, s9, 16
	s_lshl_b32 s7, s18, 5
	s_branch .LBB127_5
.LBB127_3:                              ;   in Loop: Header=BB127_5 Depth=1
	s_or_b32 exec_lo, exec_lo, s10
	global_store_d16_hi_b16 v[6:7], v9, off
.LBB127_4:                              ;   in Loop: Header=BB127_5 Depth=1
	s_wait_xcnt 0x0
	s_or_b32 exec_lo, exec_lo, s9
	v_add_nc_u32_e32 v0, s7, v0
	s_delay_alu instid0(VALU_DEP_1) | instskip(SKIP_1) | instid1(SALU_CYCLE_1)
	v_cmp_le_u32_e32 vcc_lo, s8, v0
	s_or_b32 s1, vcc_lo, s1
	s_and_not1_b32 exec_lo, exec_lo, s1
	s_cbranch_execz .LBB127_44
.LBB127_5:                              ; =>This Inner Loop Header: Depth=1
	s_and_not1_b32 vcc_lo, exec_lo, s0
	s_cbranch_vccnz .LBB127_15
; %bb.6:                                ;   in Loop: Header=BB127_5 Depth=1
	v_mul_u64_e32 v[6:7], s[4:5], v[0:1]
	v_mul_u64_e32 v[8:9], s[2:3], v[0:1]
	s_delay_alu instid0(VALU_DEP_2)
	v_lshl_add_u64 v[6:7], v[6:7], 1, v[2:3]
	global_load_u16 v10, v[6:7], off
	s_wait_xcnt 0x0
	v_lshl_add_u64 v[6:7], v[8:9], 1, v[4:5]
	global_load_u16 v8, v[6:7], off
	s_wait_loadcnt 0x1
	v_lshlrev_b32_e32 v9, 16, v10
	s_delay_alu instid0(VALU_DEP_1) | instskip(NEXT) | instid1(VALU_DEP_1)
	v_mul_f32_e32 v9, s6, v9
	v_and_b32_e32 v10, 0x7f800000, v9
	s_delay_alu instid0(VALU_DEP_1) | instskip(SKIP_2) | instid1(SALU_CYCLE_1)
	v_cmp_ne_u32_e32 vcc_lo, 0x7f800000, v10
                                        ; implicit-def: $vgpr10
	s_wait_xcnt 0x0
	s_and_saveexec_b32 s9, vcc_lo
	s_xor_b32 s9, exec_lo, s9
; %bb.7:                                ;   in Loop: Header=BB127_5 Depth=1
	v_bfe_u32 v10, v9, 16, 1
	s_delay_alu instid0(VALU_DEP_1)
	v_add3_u32 v10, v9, v10, 0x7fff
                                        ; implicit-def: $vgpr9
; %bb.8:                                ;   in Loop: Header=BB127_5 Depth=1
	s_and_not1_saveexec_b32 s9, s9
; %bb.9:                                ;   in Loop: Header=BB127_5 Depth=1
	v_and_b32_e32 v10, 0xffff, v9
	v_or_b32_e32 v11, 0x10000, v9
	s_delay_alu instid0(VALU_DEP_2) | instskip(NEXT) | instid1(VALU_DEP_2)
	v_cmp_eq_u32_e32 vcc_lo, 0, v10
	v_cndmask_b32_e32 v10, v11, v9, vcc_lo
; %bb.10:                               ;   in Loop: Header=BB127_5 Depth=1
	s_or_b32 exec_lo, exec_lo, s9
	s_delay_alu instid0(VALU_DEP_1) | instskip(SKIP_2) | instid1(VALU_DEP_1)
	v_and_b32_e32 v9, 0xffff0000, v10
	s_wait_loadcnt 0x0
	v_lshlrev_b32_e32 v8, 16, v8
	v_add_f32_e32 v8, v8, v9
	s_delay_alu instid0(VALU_DEP_1) | instskip(NEXT) | instid1(VALU_DEP_1)
	v_and_b32_e32 v9, 0x7f800000, v8
	v_cmp_ne_u32_e32 vcc_lo, 0x7f800000, v9
                                        ; implicit-def: $vgpr9
	s_and_saveexec_b32 s9, vcc_lo
	s_delay_alu instid0(SALU_CYCLE_1)
	s_xor_b32 s9, exec_lo, s9
; %bb.11:                               ;   in Loop: Header=BB127_5 Depth=1
	v_bfe_u32 v9, v8, 16, 1
	s_delay_alu instid0(VALU_DEP_1)
	v_add3_u32 v9, v8, v9, 0x7fff
                                        ; implicit-def: $vgpr8
; %bb.12:                               ;   in Loop: Header=BB127_5 Depth=1
	s_and_not1_saveexec_b32 s9, s9
; %bb.13:                               ;   in Loop: Header=BB127_5 Depth=1
	v_and_b32_e32 v9, 0xffff, v8
	v_or_b32_e32 v10, 0x10000, v8
	s_delay_alu instid0(VALU_DEP_2) | instskip(NEXT) | instid1(VALU_DEP_2)
	v_cmp_eq_u32_e32 vcc_lo, 0, v9
	v_cndmask_b32_e32 v9, v10, v8, vcc_lo
; %bb.14:                               ;   in Loop: Header=BB127_5 Depth=1
	s_or_b32 exec_lo, exec_lo, s9
	global_store_d16_hi_b16 v[6:7], v9, off
.LBB127_15:                             ;   in Loop: Header=BB127_5 Depth=1
	s_wait_xcnt 0x0
	v_add_nc_u32_e32 v6, 1, v0
	s_delay_alu instid0(VALU_DEP_1) | instskip(SKIP_1) | instid1(SALU_CYCLE_1)
	v_cmp_gt_u32_e32 vcc_lo, s8, v6
	s_and_b32 s10, vcc_lo, s0
	s_and_saveexec_b32 s9, s10
	s_cbranch_execz .LBB127_25
; %bb.16:                               ;   in Loop: Header=BB127_5 Depth=1
	v_mov_b32_e32 v7, v1
	s_delay_alu instid0(VALU_DEP_1) | instskip(NEXT) | instid1(VALU_DEP_1)
	v_mul_u64_e32 v[8:9], s[4:5], v[6:7]
	v_lshl_add_u64 v[8:9], v[8:9], 1, v[2:3]
	global_load_u16 v9, v[8:9], off
	s_wait_loadcnt 0x0
	v_lshlrev_b32_e32 v9, 16, v9
	v_mul_u64_e32 v[6:7], s[2:3], v[6:7]
	s_delay_alu instid0(VALU_DEP_2) | instskip(NEXT) | instid1(VALU_DEP_1)
	v_mul_f32_e32 v9, s6, v9
	v_and_b32_e32 v10, 0x7f800000, v9
	s_delay_alu instid0(VALU_DEP_1) | instskip(NEXT) | instid1(VALU_DEP_4)
	v_cmp_ne_u32_e32 vcc_lo, 0x7f800000, v10
                                        ; implicit-def: $vgpr10
	v_lshl_add_u64 v[6:7], v[6:7], 1, v[4:5]
	global_load_u16 v8, v[6:7], off
	s_wait_xcnt 0x0
	s_and_saveexec_b32 s10, vcc_lo
	s_delay_alu instid0(SALU_CYCLE_1)
	s_xor_b32 s10, exec_lo, s10
; %bb.17:                               ;   in Loop: Header=BB127_5 Depth=1
	v_bfe_u32 v10, v9, 16, 1
	s_delay_alu instid0(VALU_DEP_1)
	v_add3_u32 v10, v9, v10, 0x7fff
                                        ; implicit-def: $vgpr9
; %bb.18:                               ;   in Loop: Header=BB127_5 Depth=1
	s_and_not1_saveexec_b32 s10, s10
; %bb.19:                               ;   in Loop: Header=BB127_5 Depth=1
	v_and_b32_e32 v10, 0xffff, v9
	v_or_b32_e32 v11, 0x10000, v9
	s_delay_alu instid0(VALU_DEP_2) | instskip(NEXT) | instid1(VALU_DEP_2)
	v_cmp_eq_u32_e32 vcc_lo, 0, v10
	v_cndmask_b32_e32 v10, v11, v9, vcc_lo
; %bb.20:                               ;   in Loop: Header=BB127_5 Depth=1
	s_or_b32 exec_lo, exec_lo, s10
	s_delay_alu instid0(VALU_DEP_1) | instskip(SKIP_2) | instid1(VALU_DEP_1)
	v_and_b32_e32 v9, 0xffff0000, v10
	s_wait_loadcnt 0x0
	v_lshlrev_b32_e32 v8, 16, v8
	v_add_f32_e32 v8, v8, v9
	s_delay_alu instid0(VALU_DEP_1) | instskip(NEXT) | instid1(VALU_DEP_1)
	v_and_b32_e32 v9, 0x7f800000, v8
	v_cmp_ne_u32_e32 vcc_lo, 0x7f800000, v9
                                        ; implicit-def: $vgpr9
	s_and_saveexec_b32 s10, vcc_lo
	s_delay_alu instid0(SALU_CYCLE_1)
	s_xor_b32 s10, exec_lo, s10
; %bb.21:                               ;   in Loop: Header=BB127_5 Depth=1
	v_bfe_u32 v9, v8, 16, 1
	s_delay_alu instid0(VALU_DEP_1)
	v_add3_u32 v9, v8, v9, 0x7fff
                                        ; implicit-def: $vgpr8
; %bb.22:                               ;   in Loop: Header=BB127_5 Depth=1
	s_and_not1_saveexec_b32 s10, s10
; %bb.23:                               ;   in Loop: Header=BB127_5 Depth=1
	v_and_b32_e32 v9, 0xffff, v8
	v_or_b32_e32 v10, 0x10000, v8
	s_delay_alu instid0(VALU_DEP_2) | instskip(NEXT) | instid1(VALU_DEP_2)
	v_cmp_eq_u32_e32 vcc_lo, 0, v9
	v_cndmask_b32_e32 v9, v10, v8, vcc_lo
; %bb.24:                               ;   in Loop: Header=BB127_5 Depth=1
	s_or_b32 exec_lo, exec_lo, s10
	global_store_d16_hi_b16 v[6:7], v9, off
.LBB127_25:                             ;   in Loop: Header=BB127_5 Depth=1
	s_wait_xcnt 0x0
	s_or_b32 exec_lo, exec_lo, s9
	v_add_nc_u32_e32 v6, 2, v0
	s_delay_alu instid0(VALU_DEP_1) | instskip(SKIP_1) | instid1(SALU_CYCLE_1)
	v_cmp_gt_u32_e32 vcc_lo, s8, v6
	s_and_b32 s10, vcc_lo, s0
	s_and_saveexec_b32 s9, s10
	s_cbranch_execz .LBB127_35
; %bb.26:                               ;   in Loop: Header=BB127_5 Depth=1
	v_mov_b32_e32 v7, v1
	s_delay_alu instid0(VALU_DEP_1) | instskip(NEXT) | instid1(VALU_DEP_1)
	v_mul_u64_e32 v[8:9], s[4:5], v[6:7]
	v_lshl_add_u64 v[8:9], v[8:9], 1, v[2:3]
	global_load_u16 v9, v[8:9], off
	s_wait_loadcnt 0x0
	v_lshlrev_b32_e32 v9, 16, v9
	v_mul_u64_e32 v[6:7], s[2:3], v[6:7]
	s_delay_alu instid0(VALU_DEP_2) | instskip(NEXT) | instid1(VALU_DEP_1)
	v_mul_f32_e32 v9, s6, v9
	v_and_b32_e32 v10, 0x7f800000, v9
	s_delay_alu instid0(VALU_DEP_1) | instskip(NEXT) | instid1(VALU_DEP_4)
	v_cmp_ne_u32_e32 vcc_lo, 0x7f800000, v10
                                        ; implicit-def: $vgpr10
	v_lshl_add_u64 v[6:7], v[6:7], 1, v[4:5]
	global_load_u16 v8, v[6:7], off
	s_wait_xcnt 0x0
	s_and_saveexec_b32 s10, vcc_lo
	s_delay_alu instid0(SALU_CYCLE_1)
	s_xor_b32 s10, exec_lo, s10
; %bb.27:                               ;   in Loop: Header=BB127_5 Depth=1
	v_bfe_u32 v10, v9, 16, 1
	s_delay_alu instid0(VALU_DEP_1)
	v_add3_u32 v10, v9, v10, 0x7fff
                                        ; implicit-def: $vgpr9
; %bb.28:                               ;   in Loop: Header=BB127_5 Depth=1
	s_and_not1_saveexec_b32 s10, s10
; %bb.29:                               ;   in Loop: Header=BB127_5 Depth=1
	v_and_b32_e32 v10, 0xffff, v9
	v_or_b32_e32 v11, 0x10000, v9
	s_delay_alu instid0(VALU_DEP_2) | instskip(NEXT) | instid1(VALU_DEP_2)
	v_cmp_eq_u32_e32 vcc_lo, 0, v10
	v_cndmask_b32_e32 v10, v11, v9, vcc_lo
; %bb.30:                               ;   in Loop: Header=BB127_5 Depth=1
	s_or_b32 exec_lo, exec_lo, s10
	s_delay_alu instid0(VALU_DEP_1) | instskip(SKIP_2) | instid1(VALU_DEP_1)
	v_and_b32_e32 v9, 0xffff0000, v10
	s_wait_loadcnt 0x0
	v_lshlrev_b32_e32 v8, 16, v8
	v_add_f32_e32 v8, v8, v9
	s_delay_alu instid0(VALU_DEP_1) | instskip(NEXT) | instid1(VALU_DEP_1)
	v_and_b32_e32 v9, 0x7f800000, v8
	v_cmp_ne_u32_e32 vcc_lo, 0x7f800000, v9
                                        ; implicit-def: $vgpr9
	s_and_saveexec_b32 s10, vcc_lo
	s_delay_alu instid0(SALU_CYCLE_1)
	s_xor_b32 s10, exec_lo, s10
; %bb.31:                               ;   in Loop: Header=BB127_5 Depth=1
	v_bfe_u32 v9, v8, 16, 1
	s_delay_alu instid0(VALU_DEP_1)
	v_add3_u32 v9, v8, v9, 0x7fff
                                        ; implicit-def: $vgpr8
; %bb.32:                               ;   in Loop: Header=BB127_5 Depth=1
	s_and_not1_saveexec_b32 s10, s10
; %bb.33:                               ;   in Loop: Header=BB127_5 Depth=1
	v_and_b32_e32 v9, 0xffff, v8
	v_or_b32_e32 v10, 0x10000, v8
	s_delay_alu instid0(VALU_DEP_2) | instskip(NEXT) | instid1(VALU_DEP_2)
	v_cmp_eq_u32_e32 vcc_lo, 0, v9
	v_cndmask_b32_e32 v9, v10, v8, vcc_lo
; %bb.34:                               ;   in Loop: Header=BB127_5 Depth=1
	s_or_b32 exec_lo, exec_lo, s10
	global_store_d16_hi_b16 v[6:7], v9, off
.LBB127_35:                             ;   in Loop: Header=BB127_5 Depth=1
	s_wait_xcnt 0x0
	s_or_b32 exec_lo, exec_lo, s9
	v_add_nc_u32_e32 v6, 3, v0
	s_delay_alu instid0(VALU_DEP_1) | instskip(SKIP_1) | instid1(SALU_CYCLE_1)
	v_cmp_gt_u32_e32 vcc_lo, s8, v6
	s_and_b32 s10, vcc_lo, s0
	s_and_saveexec_b32 s9, s10
	s_cbranch_execz .LBB127_4
; %bb.36:                               ;   in Loop: Header=BB127_5 Depth=1
	v_mov_b32_e32 v7, v1
	s_delay_alu instid0(VALU_DEP_1) | instskip(NEXT) | instid1(VALU_DEP_1)
	v_mul_u64_e32 v[8:9], s[4:5], v[6:7]
	v_lshl_add_u64 v[8:9], v[8:9], 1, v[2:3]
	global_load_u16 v9, v[8:9], off
	s_wait_loadcnt 0x0
	v_lshlrev_b32_e32 v9, 16, v9
	v_mul_u64_e32 v[6:7], s[2:3], v[6:7]
	s_delay_alu instid0(VALU_DEP_2) | instskip(NEXT) | instid1(VALU_DEP_1)
	v_mul_f32_e32 v9, s6, v9
	v_and_b32_e32 v10, 0x7f800000, v9
	s_delay_alu instid0(VALU_DEP_1) | instskip(NEXT) | instid1(VALU_DEP_4)
	v_cmp_ne_u32_e32 vcc_lo, 0x7f800000, v10
                                        ; implicit-def: $vgpr10
	v_lshl_add_u64 v[6:7], v[6:7], 1, v[4:5]
	global_load_u16 v8, v[6:7], off
	s_wait_xcnt 0x0
	s_and_saveexec_b32 s10, vcc_lo
	s_delay_alu instid0(SALU_CYCLE_1)
	s_xor_b32 s10, exec_lo, s10
; %bb.37:                               ;   in Loop: Header=BB127_5 Depth=1
	v_bfe_u32 v10, v9, 16, 1
	s_delay_alu instid0(VALU_DEP_1)
	v_add3_u32 v10, v9, v10, 0x7fff
                                        ; implicit-def: $vgpr9
; %bb.38:                               ;   in Loop: Header=BB127_5 Depth=1
	s_and_not1_saveexec_b32 s10, s10
; %bb.39:                               ;   in Loop: Header=BB127_5 Depth=1
	v_and_b32_e32 v10, 0xffff, v9
	v_or_b32_e32 v11, 0x10000, v9
	s_delay_alu instid0(VALU_DEP_2) | instskip(NEXT) | instid1(VALU_DEP_2)
	v_cmp_eq_u32_e32 vcc_lo, 0, v10
	v_cndmask_b32_e32 v10, v11, v9, vcc_lo
; %bb.40:                               ;   in Loop: Header=BB127_5 Depth=1
	s_or_b32 exec_lo, exec_lo, s10
	s_delay_alu instid0(VALU_DEP_1) | instskip(SKIP_2) | instid1(VALU_DEP_1)
	v_and_b32_e32 v9, 0xffff0000, v10
	s_wait_loadcnt 0x0
	v_lshlrev_b32_e32 v8, 16, v8
	v_add_f32_e32 v8, v8, v9
	s_delay_alu instid0(VALU_DEP_1) | instskip(NEXT) | instid1(VALU_DEP_1)
	v_and_b32_e32 v9, 0x7f800000, v8
	v_cmp_ne_u32_e32 vcc_lo, 0x7f800000, v9
                                        ; implicit-def: $vgpr9
	s_and_saveexec_b32 s10, vcc_lo
	s_delay_alu instid0(SALU_CYCLE_1)
	s_xor_b32 s10, exec_lo, s10
; %bb.41:                               ;   in Loop: Header=BB127_5 Depth=1
	v_bfe_u32 v9, v8, 16, 1
	s_delay_alu instid0(VALU_DEP_1)
	v_add3_u32 v9, v8, v9, 0x7fff
                                        ; implicit-def: $vgpr8
; %bb.42:                               ;   in Loop: Header=BB127_5 Depth=1
	s_and_not1_saveexec_b32 s10, s10
	s_cbranch_execz .LBB127_3
; %bb.43:                               ;   in Loop: Header=BB127_5 Depth=1
	v_and_b32_e32 v9, 0xffff, v8
	v_or_b32_e32 v10, 0x10000, v8
	s_delay_alu instid0(VALU_DEP_2) | instskip(NEXT) | instid1(VALU_DEP_2)
	v_cmp_eq_u32_e32 vcc_lo, 0, v9
	v_cndmask_b32_e32 v9, v10, v8, vcc_lo
	s_branch .LBB127_3
.LBB127_44:
	s_endpgm
	.section	.rodata,"a",@progbits
	.p2align	6, 0x0
	.amdhsa_kernel _ZL27rocblas_axpy_kernel_batchedIiLi128ELi8Ef16rocblas_bfloat16PKS0_PS0_EviT3_lT4_lT_lT5_lS6_li
		.amdhsa_group_segment_fixed_size 0
		.amdhsa_private_segment_fixed_size 0
		.amdhsa_kernarg_size 344
		.amdhsa_user_sgpr_count 2
		.amdhsa_user_sgpr_dispatch_ptr 0
		.amdhsa_user_sgpr_queue_ptr 0
		.amdhsa_user_sgpr_kernarg_segment_ptr 1
		.amdhsa_user_sgpr_dispatch_id 0
		.amdhsa_user_sgpr_kernarg_preload_length 0
		.amdhsa_user_sgpr_kernarg_preload_offset 0
		.amdhsa_user_sgpr_private_segment_size 0
		.amdhsa_wavefront_size32 1
		.amdhsa_uses_dynamic_stack 0
		.amdhsa_enable_private_segment 0
		.amdhsa_system_sgpr_workgroup_id_x 1
		.amdhsa_system_sgpr_workgroup_id_y 0
		.amdhsa_system_sgpr_workgroup_id_z 1
		.amdhsa_system_sgpr_workgroup_info 0
		.amdhsa_system_vgpr_workitem_id 1
		.amdhsa_next_free_vgpr 12
		.amdhsa_next_free_sgpr 19
		.amdhsa_named_barrier_count 0
		.amdhsa_reserve_vcc 1
		.amdhsa_float_round_mode_32 0
		.amdhsa_float_round_mode_16_64 0
		.amdhsa_float_denorm_mode_32 3
		.amdhsa_float_denorm_mode_16_64 3
		.amdhsa_fp16_overflow 0
		.amdhsa_memory_ordered 1
		.amdhsa_forward_progress 1
		.amdhsa_inst_pref_size 14
		.amdhsa_round_robin_scheduling 0
		.amdhsa_exception_fp_ieee_invalid_op 0
		.amdhsa_exception_fp_denorm_src 0
		.amdhsa_exception_fp_ieee_div_zero 0
		.amdhsa_exception_fp_ieee_overflow 0
		.amdhsa_exception_fp_ieee_underflow 0
		.amdhsa_exception_fp_ieee_inexact 0
		.amdhsa_exception_int_div_zero 0
	.end_amdhsa_kernel
	.section	.text._ZL27rocblas_axpy_kernel_batchedIiLi128ELi8Ef16rocblas_bfloat16PKS0_PS0_EviT3_lT4_lT_lT5_lS6_li,"axG",@progbits,_ZL27rocblas_axpy_kernel_batchedIiLi128ELi8Ef16rocblas_bfloat16PKS0_PS0_EviT3_lT4_lT_lT5_lS6_li,comdat
.Lfunc_end127:
	.size	_ZL27rocblas_axpy_kernel_batchedIiLi128ELi8Ef16rocblas_bfloat16PKS0_PS0_EviT3_lT4_lT_lT5_lS6_li, .Lfunc_end127-_ZL27rocblas_axpy_kernel_batchedIiLi128ELi8Ef16rocblas_bfloat16PKS0_PS0_EviT3_lT4_lT_lT5_lS6_li
                                        ; -- End function
	.set _ZL27rocblas_axpy_kernel_batchedIiLi128ELi8Ef16rocblas_bfloat16PKS0_PS0_EviT3_lT4_lT_lT5_lS6_li.num_vgpr, 12
	.set _ZL27rocblas_axpy_kernel_batchedIiLi128ELi8Ef16rocblas_bfloat16PKS0_PS0_EviT3_lT4_lT_lT5_lS6_li.num_agpr, 0
	.set _ZL27rocblas_axpy_kernel_batchedIiLi128ELi8Ef16rocblas_bfloat16PKS0_PS0_EviT3_lT4_lT_lT5_lS6_li.numbered_sgpr, 19
	.set _ZL27rocblas_axpy_kernel_batchedIiLi128ELi8Ef16rocblas_bfloat16PKS0_PS0_EviT3_lT4_lT_lT5_lS6_li.num_named_barrier, 0
	.set _ZL27rocblas_axpy_kernel_batchedIiLi128ELi8Ef16rocblas_bfloat16PKS0_PS0_EviT3_lT4_lT_lT5_lS6_li.private_seg_size, 0
	.set _ZL27rocblas_axpy_kernel_batchedIiLi128ELi8Ef16rocblas_bfloat16PKS0_PS0_EviT3_lT4_lT_lT5_lS6_li.uses_vcc, 1
	.set _ZL27rocblas_axpy_kernel_batchedIiLi128ELi8Ef16rocblas_bfloat16PKS0_PS0_EviT3_lT4_lT_lT5_lS6_li.uses_flat_scratch, 0
	.set _ZL27rocblas_axpy_kernel_batchedIiLi128ELi8Ef16rocblas_bfloat16PKS0_PS0_EviT3_lT4_lT_lT5_lS6_li.has_dyn_sized_stack, 0
	.set _ZL27rocblas_axpy_kernel_batchedIiLi128ELi8Ef16rocblas_bfloat16PKS0_PS0_EviT3_lT4_lT_lT5_lS6_li.has_recursion, 0
	.set _ZL27rocblas_axpy_kernel_batchedIiLi128ELi8Ef16rocblas_bfloat16PKS0_PS0_EviT3_lT4_lT_lT5_lS6_li.has_indirect_call, 0
	.section	.AMDGPU.csdata,"",@progbits
; Kernel info:
; codeLenInByte = 1672
; TotalNumSgprs: 21
; NumVgprs: 12
; ScratchSize: 0
; MemoryBound: 0
; FloatMode: 240
; IeeeMode: 1
; LDSByteSize: 0 bytes/workgroup (compile time only)
; SGPRBlocks: 0
; VGPRBlocks: 0
; NumSGPRsForWavesPerEU: 21
; NumVGPRsForWavesPerEU: 12
; NamedBarCnt: 0
; Occupancy: 16
; WaveLimiterHint : 0
; COMPUTE_PGM_RSRC2:SCRATCH_EN: 0
; COMPUTE_PGM_RSRC2:USER_SGPR: 2
; COMPUTE_PGM_RSRC2:TRAP_HANDLER: 0
; COMPUTE_PGM_RSRC2:TGID_X_EN: 1
; COMPUTE_PGM_RSRC2:TGID_Y_EN: 0
; COMPUTE_PGM_RSRC2:TGID_Z_EN: 1
; COMPUTE_PGM_RSRC2:TIDIG_COMP_CNT: 1
	.section	.text._ZL19rocblas_axpy_kernelIiLi256EfPK16rocblas_bfloat16S2_PS0_EviT2_lT3_lT_lT4_lS6_li,"axG",@progbits,_ZL19rocblas_axpy_kernelIiLi256EfPK16rocblas_bfloat16S2_PS0_EviT2_lT3_lT_lT4_lS6_li,comdat
	.globl	_ZL19rocblas_axpy_kernelIiLi256EfPK16rocblas_bfloat16S2_PS0_EviT2_lT3_lT_lT4_lS6_li ; -- Begin function _ZL19rocblas_axpy_kernelIiLi256EfPK16rocblas_bfloat16S2_PS0_EviT2_lT3_lT_lT4_lS6_li
	.p2align	8
	.type	_ZL19rocblas_axpy_kernelIiLi256EfPK16rocblas_bfloat16S2_PS0_EviT2_lT3_lT_lT4_lS6_li,@function
_ZL19rocblas_axpy_kernelIiLi256EfPK16rocblas_bfloat16S2_PS0_EviT2_lT3_lT_lT4_lS6_li: ; @_ZL19rocblas_axpy_kernelIiLi256EfPK16rocblas_bfloat16S2_PS0_EviT2_lT3_lT_lT4_lS6_li
; %bb.0:
	s_load_b32 s18, s[0:1], 0x58
	s_bfe_u32 s2, ttmp6, 0x40014
	s_lshr_b32 s3, ttmp7, 16
	s_add_co_i32 s2, s2, 1
	s_bfe_u32 s4, ttmp6, 0x40008
	s_mul_i32 s2, s3, s2
	s_getreg_b32 s12, hwreg(HW_REG_IB_STS2, 6, 4)
	s_add_co_i32 s4, s4, s2
	s_cmp_eq_u32 s12, 0
	s_cselect_b32 s2, s3, s4
	s_mov_b32 s3, 0
	s_wait_kmcnt 0x0
	s_cmp_ge_u32 s2, s18
	s_cbranch_scc1 .LBB128_13
; %bb.1:
	s_clause 0x3
	s_load_b32 s24, s[0:1], 0x0
	s_load_b32 s14, s[0:1], 0x28
	s_load_b96 s[20:22], s[0:1], 0x40
	s_load_b256 s[4:11], s[0:1], 0x8
	s_bfe_u32 s13, ttmp6, 0x4000c
	s_and_b32 s15, ttmp6, 15
	s_add_co_i32 s13, s13, 1
	v_mov_b32_e32 v1, 0
	s_mul_i32 s13, ttmp9, s13
	s_load_b64 s[16:17], s[0:1], 0x50
	s_add_co_i32 s19, s15, s13
	s_wait_kmcnt 0x0
	s_ashr_i32 s25, s24, 31
	s_ashr_i32 s15, s14, 31
	s_ashr_i32 s13, s22, 31
	s_lshl_b64 s[20:21], s[20:21], 1
	s_lshl_b64 s[10:11], s[10:11], 1
	s_cmp_eq_u32 s12, 0
	s_add_nc_u64 s[8:9], s[8:9], s[10:11]
	s_cselect_b32 s12, ttmp9, s19
	s_delay_alu instid0(SALU_CYCLE_1) | instskip(SKIP_1) | instid1(VALU_DEP_1)
	v_lshl_or_b32 v0, s12, 8, v0
	s_mov_b32 s12, s22
	v_mul_u64_e32 v[2:3], s[14:15], v[0:1]
	v_mul_u64_e32 v[4:5], s[12:13], v[0:1]
	s_load_b128 s[12:15], s[0:1], 0x30
	v_cmp_gt_i64_e32 vcc_lo, s[24:25], v[0:1]
	s_wait_kmcnt 0x0
	s_add_nc_u64 s[0:1], s[14:15], s[20:21]
	s_delay_alu instid0(VALU_DEP_3) | instskip(NEXT) | instid1(VALU_DEP_3)
	v_lshl_add_u64 v[2:3], v[2:3], 1, s[8:9]
	v_lshl_add_u64 v[4:5], v[4:5], 1, s[0:1]
	s_branch .LBB128_4
.LBB128_2:                              ;   in Loop: Header=BB128_4 Depth=1
	s_or_b32 exec_lo, exec_lo, s8
	global_store_d16_hi_b16 v[6:7], v8, off
.LBB128_3:                              ;   in Loop: Header=BB128_4 Depth=1
	s_wait_xcnt 0x0
	s_or_b32 exec_lo, exec_lo, s1
	s_add_co_i32 s2, s2, 0x10000
	s_delay_alu instid0(SALU_CYCLE_1)
	s_cmp_lt_u32 s2, s18
	s_cbranch_scc0 .LBB128_13
.LBB128_4:                              ; =>This Inner Loop Header: Depth=1
	s_mul_u64 s[0:1], s[6:7], s[2:3]
	s_delay_alu instid0(SALU_CYCLE_1) | instskip(NEXT) | instid1(SALU_CYCLE_1)
	s_lshl_b64 s[0:1], s[0:1], 1
	s_add_nc_u64 s[0:1], s[4:5], s[0:1]
	global_load_u16 v8, v1, s[0:1]
	s_wait_loadcnt 0x0
	s_wait_xcnt 0x0
	v_readfirstlane_b32 s0, v8
	s_and_b32 s0, s0, 0x7fff
	s_delay_alu instid0(SALU_CYCLE_1) | instskip(SKIP_1) | instid1(SALU_CYCLE_1)
	s_cmp_lg_u32 s0, 0
	s_cselect_b32 s0, -1, 0
	s_and_b32 s0, vcc_lo, s0
	s_delay_alu instid0(SALU_CYCLE_1)
	s_and_saveexec_b32 s1, s0
	s_cbranch_execz .LBB128_3
; %bb.5:                                ;   in Loop: Header=BB128_4 Depth=1
	s_mul_u64 s[8:9], s[12:13], s[2:3]
	v_lshlrev_b32_e32 v8, 16, v8
	v_lshl_add_u64 v[6:7], s[8:9], 1, v[2:3]
	s_mul_u64 s[8:9], s[16:17], s[2:3]
	global_load_u16 v9, v[6:7], off
	s_wait_xcnt 0x0
	v_lshl_add_u64 v[6:7], s[8:9], 1, v[4:5]
	global_load_u16 v0, v[6:7], off
	s_wait_loadcnt 0x1
	v_lshlrev_b32_e32 v9, 16, v9
	s_delay_alu instid0(VALU_DEP_1) | instskip(NEXT) | instid1(VALU_DEP_1)
	v_mul_f32_e32 v8, v9, v8
	v_and_b32_e32 v9, 0x7f800000, v8
	s_delay_alu instid0(VALU_DEP_1) | instskip(SKIP_2) | instid1(SALU_CYCLE_1)
	v_cmp_ne_u32_e64 s0, 0x7f800000, v9
                                        ; implicit-def: $vgpr9
	s_wait_xcnt 0x0
	s_and_saveexec_b32 s8, s0
	s_xor_b32 s0, exec_lo, s8
; %bb.6:                                ;   in Loop: Header=BB128_4 Depth=1
	v_bfe_u32 v9, v8, 16, 1
	s_delay_alu instid0(VALU_DEP_1)
	v_add3_u32 v9, v8, v9, 0x7fff
                                        ; implicit-def: $vgpr8
; %bb.7:                                ;   in Loop: Header=BB128_4 Depth=1
	s_and_not1_saveexec_b32 s8, s0
; %bb.8:                                ;   in Loop: Header=BB128_4 Depth=1
	v_and_b32_e32 v9, 0xffff, v8
	v_or_b32_e32 v10, 0x10000, v8
	s_delay_alu instid0(VALU_DEP_2) | instskip(NEXT) | instid1(VALU_DEP_1)
	v_cmp_eq_u32_e64 s0, 0, v9
	v_cndmask_b32_e64 v9, v10, v8, s0
; %bb.9:                                ;   in Loop: Header=BB128_4 Depth=1
	s_or_b32 exec_lo, exec_lo, s8
	s_delay_alu instid0(VALU_DEP_1) | instskip(SKIP_2) | instid1(VALU_DEP_1)
	v_and_b32_e32 v8, 0xffff0000, v9
	s_wait_loadcnt 0x0
	v_lshlrev_b32_e32 v0, 16, v0
	v_add_f32_e32 v0, v0, v8
	s_delay_alu instid0(VALU_DEP_1) | instskip(NEXT) | instid1(VALU_DEP_1)
	v_and_b32_e32 v8, 0x7f800000, v0
	v_cmp_ne_u32_e64 s0, 0x7f800000, v8
                                        ; implicit-def: $vgpr8
	s_and_saveexec_b32 s8, s0
	s_delay_alu instid0(SALU_CYCLE_1)
	s_xor_b32 s0, exec_lo, s8
; %bb.10:                               ;   in Loop: Header=BB128_4 Depth=1
	v_bfe_u32 v8, v0, 16, 1
	s_delay_alu instid0(VALU_DEP_1)
	v_add3_u32 v8, v0, v8, 0x7fff
                                        ; implicit-def: $vgpr0
; %bb.11:                               ;   in Loop: Header=BB128_4 Depth=1
	s_and_not1_saveexec_b32 s8, s0
	s_cbranch_execz .LBB128_2
; %bb.12:                               ;   in Loop: Header=BB128_4 Depth=1
	v_and_b32_e32 v8, 0xffff, v0
	v_or_b32_e32 v9, 0x10000, v0
	s_delay_alu instid0(VALU_DEP_2) | instskip(NEXT) | instid1(VALU_DEP_1)
	v_cmp_eq_u32_e64 s0, 0, v8
	v_cndmask_b32_e64 v8, v9, v0, s0
	s_branch .LBB128_2
.LBB128_13:
	s_endpgm
	.section	.rodata,"a",@progbits
	.p2align	6, 0x0
	.amdhsa_kernel _ZL19rocblas_axpy_kernelIiLi256EfPK16rocblas_bfloat16S2_PS0_EviT2_lT3_lT_lT4_lS6_li
		.amdhsa_group_segment_fixed_size 0
		.amdhsa_private_segment_fixed_size 0
		.amdhsa_kernarg_size 92
		.amdhsa_user_sgpr_count 2
		.amdhsa_user_sgpr_dispatch_ptr 0
		.amdhsa_user_sgpr_queue_ptr 0
		.amdhsa_user_sgpr_kernarg_segment_ptr 1
		.amdhsa_user_sgpr_dispatch_id 0
		.amdhsa_user_sgpr_kernarg_preload_length 0
		.amdhsa_user_sgpr_kernarg_preload_offset 0
		.amdhsa_user_sgpr_private_segment_size 0
		.amdhsa_wavefront_size32 1
		.amdhsa_uses_dynamic_stack 0
		.amdhsa_enable_private_segment 0
		.amdhsa_system_sgpr_workgroup_id_x 1
		.amdhsa_system_sgpr_workgroup_id_y 0
		.amdhsa_system_sgpr_workgroup_id_z 1
		.amdhsa_system_sgpr_workgroup_info 0
		.amdhsa_system_vgpr_workitem_id 0
		.amdhsa_next_free_vgpr 11
		.amdhsa_next_free_sgpr 26
		.amdhsa_named_barrier_count 0
		.amdhsa_reserve_vcc 1
		.amdhsa_float_round_mode_32 0
		.amdhsa_float_round_mode_16_64 0
		.amdhsa_float_denorm_mode_32 3
		.amdhsa_float_denorm_mode_16_64 3
		.amdhsa_fp16_overflow 0
		.amdhsa_memory_ordered 1
		.amdhsa_forward_progress 1
		.amdhsa_inst_pref_size 6
		.amdhsa_round_robin_scheduling 0
		.amdhsa_exception_fp_ieee_invalid_op 0
		.amdhsa_exception_fp_denorm_src 0
		.amdhsa_exception_fp_ieee_div_zero 0
		.amdhsa_exception_fp_ieee_overflow 0
		.amdhsa_exception_fp_ieee_underflow 0
		.amdhsa_exception_fp_ieee_inexact 0
		.amdhsa_exception_int_div_zero 0
	.end_amdhsa_kernel
	.section	.text._ZL19rocblas_axpy_kernelIiLi256EfPK16rocblas_bfloat16S2_PS0_EviT2_lT3_lT_lT4_lS6_li,"axG",@progbits,_ZL19rocblas_axpy_kernelIiLi256EfPK16rocblas_bfloat16S2_PS0_EviT2_lT3_lT_lT4_lS6_li,comdat
.Lfunc_end128:
	.size	_ZL19rocblas_axpy_kernelIiLi256EfPK16rocblas_bfloat16S2_PS0_EviT2_lT3_lT_lT4_lS6_li, .Lfunc_end128-_ZL19rocblas_axpy_kernelIiLi256EfPK16rocblas_bfloat16S2_PS0_EviT2_lT3_lT_lT4_lS6_li
                                        ; -- End function
	.set _ZL19rocblas_axpy_kernelIiLi256EfPK16rocblas_bfloat16S2_PS0_EviT2_lT3_lT_lT4_lS6_li.num_vgpr, 11
	.set _ZL19rocblas_axpy_kernelIiLi256EfPK16rocblas_bfloat16S2_PS0_EviT2_lT3_lT_lT4_lS6_li.num_agpr, 0
	.set _ZL19rocblas_axpy_kernelIiLi256EfPK16rocblas_bfloat16S2_PS0_EviT2_lT3_lT_lT4_lS6_li.numbered_sgpr, 26
	.set _ZL19rocblas_axpy_kernelIiLi256EfPK16rocblas_bfloat16S2_PS0_EviT2_lT3_lT_lT4_lS6_li.num_named_barrier, 0
	.set _ZL19rocblas_axpy_kernelIiLi256EfPK16rocblas_bfloat16S2_PS0_EviT2_lT3_lT_lT4_lS6_li.private_seg_size, 0
	.set _ZL19rocblas_axpy_kernelIiLi256EfPK16rocblas_bfloat16S2_PS0_EviT2_lT3_lT_lT4_lS6_li.uses_vcc, 1
	.set _ZL19rocblas_axpy_kernelIiLi256EfPK16rocblas_bfloat16S2_PS0_EviT2_lT3_lT_lT4_lS6_li.uses_flat_scratch, 0
	.set _ZL19rocblas_axpy_kernelIiLi256EfPK16rocblas_bfloat16S2_PS0_EviT2_lT3_lT_lT4_lS6_li.has_dyn_sized_stack, 0
	.set _ZL19rocblas_axpy_kernelIiLi256EfPK16rocblas_bfloat16S2_PS0_EviT2_lT3_lT_lT4_lS6_li.has_recursion, 0
	.set _ZL19rocblas_axpy_kernelIiLi256EfPK16rocblas_bfloat16S2_PS0_EviT2_lT3_lT_lT4_lS6_li.has_indirect_call, 0
	.section	.AMDGPU.csdata,"",@progbits
; Kernel info:
; codeLenInByte = 676
; TotalNumSgprs: 28
; NumVgprs: 11
; ScratchSize: 0
; MemoryBound: 0
; FloatMode: 240
; IeeeMode: 1
; LDSByteSize: 0 bytes/workgroup (compile time only)
; SGPRBlocks: 0
; VGPRBlocks: 0
; NumSGPRsForWavesPerEU: 28
; NumVGPRsForWavesPerEU: 11
; NamedBarCnt: 0
; Occupancy: 16
; WaveLimiterHint : 0
; COMPUTE_PGM_RSRC2:SCRATCH_EN: 0
; COMPUTE_PGM_RSRC2:USER_SGPR: 2
; COMPUTE_PGM_RSRC2:TRAP_HANDLER: 0
; COMPUTE_PGM_RSRC2:TGID_X_EN: 1
; COMPUTE_PGM_RSRC2:TGID_Y_EN: 0
; COMPUTE_PGM_RSRC2:TGID_Z_EN: 1
; COMPUTE_PGM_RSRC2:TIDIG_COMP_CNT: 0
	.section	.text._ZL19rocblas_axpy_kernelIiLi256Ef16rocblas_bfloat16PKS0_PS0_EviT2_lT3_lT_lT4_lS6_li,"axG",@progbits,_ZL19rocblas_axpy_kernelIiLi256Ef16rocblas_bfloat16PKS0_PS0_EviT2_lT3_lT_lT4_lS6_li,comdat
	.globl	_ZL19rocblas_axpy_kernelIiLi256Ef16rocblas_bfloat16PKS0_PS0_EviT2_lT3_lT_lT4_lS6_li ; -- Begin function _ZL19rocblas_axpy_kernelIiLi256Ef16rocblas_bfloat16PKS0_PS0_EviT2_lT3_lT_lT4_lS6_li
	.p2align	8
	.type	_ZL19rocblas_axpy_kernelIiLi256Ef16rocblas_bfloat16PKS0_PS0_EviT2_lT3_lT_lT4_lS6_li,@function
_ZL19rocblas_axpy_kernelIiLi256Ef16rocblas_bfloat16PKS0_PS0_EviT2_lT3_lT_lT4_lS6_li: ; @_ZL19rocblas_axpy_kernelIiLi256Ef16rocblas_bfloat16PKS0_PS0_EviT2_lT3_lT_lT4_lS6_li
; %bb.0:
	s_load_b32 s12, s[0:1], 0x50
	s_bfe_u32 s2, ttmp6, 0x40014
	s_lshr_b32 s3, ttmp7, 16
	s_add_co_i32 s2, s2, 1
	s_bfe_u32 s5, ttmp6, 0x40008
	s_mul_i32 s4, s3, s2
	s_getreg_b32 s2, hwreg(HW_REG_IB_STS2, 6, 4)
	s_add_co_i32 s5, s5, s4
	s_cmp_eq_u32 s2, 0
	s_mov_b32 s9, 0
	s_cselect_b32 s8, s3, s5
	s_wait_kmcnt 0x0
	s_cmp_ge_u32 s8, s12
	s_cbranch_scc1 .LBB129_13
; %bb.1:
	s_clause 0x2
	s_load_b32 s14, s[0:1], 0x20
	s_load_b96 s[16:18], s[0:1], 0x38
	s_load_b128 s[4:7], s[0:1], 0x10
	s_bfe_u32 s3, ttmp6, 0x4000c
	s_and_b32 s13, ttmp6, 15
	s_add_co_i32 s3, s3, 1
	v_mov_b32_e32 v1, 0
	s_mul_i32 s3, ttmp9, s3
	s_clause 0x1
	s_load_b64 s[20:21], s[0:1], 0x0
	s_load_b64 s[10:11], s[0:1], 0x48
	s_add_co_i32 s13, s13, s3
	s_wait_kmcnt 0x0
	s_ashr_i32 s15, s14, 31
	s_ashr_i32 s3, s18, 31
	s_lshl_b64 s[16:17], s[16:17], 1
	s_lshl_b64 s[6:7], s[6:7], 1
	s_cmp_eq_u32 s2, 0
	s_add_nc_u64 s[4:5], s[4:5], s[6:7]
	s_cselect_b32 s2, ttmp9, s13
	s_delay_alu instid0(SALU_CYCLE_1) | instskip(SKIP_2) | instid1(SALU_CYCLE_1)
	v_lshl_or_b32 v0, s2, 8, v0
	s_mov_b32 s2, s18
	s_and_b32 s13, s21, 0x7fff
	s_cmp_lg_u32 s13, 0
	s_delay_alu instid0(VALU_DEP_1)
	v_mul_u64_e32 v[2:3], s[14:15], v[0:1]
	v_mul_u64_e32 v[4:5], s[2:3], v[0:1]
	s_load_b128 s[0:3], s[0:1], 0x28
	s_mov_b32 s14, s20
	s_cselect_b32 s13, -1, 0
	s_ashr_i32 s15, s20, 31
	s_delay_alu instid0(SALU_CYCLE_1) | instskip(SKIP_2) | instid1(VALU_DEP_3)
	v_cmp_gt_i64_e32 vcc_lo, s[14:15], v[0:1]
	s_wait_kmcnt 0x0
	s_add_nc_u64 s[2:3], s[2:3], s[16:17]
	v_lshl_add_u64 v[0:1], v[2:3], 1, s[4:5]
	s_delay_alu instid0(VALU_DEP_3)
	v_lshl_add_u64 v[2:3], v[4:5], 1, s[2:3]
	s_and_b32 s2, vcc_lo, s13
	s_lshl_b32 s3, s21, 16
	s_branch .LBB129_4
.LBB129_2:                              ;   in Loop: Header=BB129_4 Depth=1
	s_or_b32 exec_lo, exec_lo, s5
	global_store_d16_hi_b16 v[4:5], v7, off
.LBB129_3:                              ;   in Loop: Header=BB129_4 Depth=1
	s_wait_xcnt 0x0
	s_or_b32 exec_lo, exec_lo, s4
	s_add_co_i32 s8, s8, 0x10000
	s_delay_alu instid0(SALU_CYCLE_1)
	s_cmp_lt_u32 s8, s12
	s_cbranch_scc0 .LBB129_13
.LBB129_4:                              ; =>This Inner Loop Header: Depth=1
	s_and_saveexec_b32 s4, s2
	s_cbranch_execz .LBB129_3
; %bb.5:                                ;   in Loop: Header=BB129_4 Depth=1
	s_mul_u64 s[6:7], s[0:1], s[8:9]
	s_delay_alu instid0(SALU_CYCLE_1)
	v_lshl_add_u64 v[4:5], s[6:7], 1, v[0:1]
	s_mul_u64 s[6:7], s[10:11], s[8:9]
	global_load_u16 v7, v[4:5], off
	s_wait_xcnt 0x0
	v_lshl_add_u64 v[4:5], s[6:7], 1, v[2:3]
	global_load_u16 v6, v[4:5], off
	s_wait_loadcnt 0x1
	v_lshlrev_b32_e32 v7, 16, v7
	s_delay_alu instid0(VALU_DEP_1) | instskip(NEXT) | instid1(VALU_DEP_1)
	v_mul_f32_e32 v7, s3, v7
	v_and_b32_e32 v8, 0x7f800000, v7
	s_delay_alu instid0(VALU_DEP_1) | instskip(SKIP_2) | instid1(SALU_CYCLE_1)
	v_cmp_ne_u32_e32 vcc_lo, 0x7f800000, v8
                                        ; implicit-def: $vgpr8
	s_wait_xcnt 0x0
	s_and_saveexec_b32 s5, vcc_lo
	s_xor_b32 s5, exec_lo, s5
; %bb.6:                                ;   in Loop: Header=BB129_4 Depth=1
	v_bfe_u32 v8, v7, 16, 1
	s_delay_alu instid0(VALU_DEP_1)
	v_add3_u32 v8, v7, v8, 0x7fff
                                        ; implicit-def: $vgpr7
; %bb.7:                                ;   in Loop: Header=BB129_4 Depth=1
	s_and_not1_saveexec_b32 s5, s5
; %bb.8:                                ;   in Loop: Header=BB129_4 Depth=1
	v_and_b32_e32 v8, 0xffff, v7
	v_or_b32_e32 v9, 0x10000, v7
	s_delay_alu instid0(VALU_DEP_2) | instskip(NEXT) | instid1(VALU_DEP_2)
	v_cmp_eq_u32_e32 vcc_lo, 0, v8
	v_cndmask_b32_e32 v8, v9, v7, vcc_lo
; %bb.9:                                ;   in Loop: Header=BB129_4 Depth=1
	s_or_b32 exec_lo, exec_lo, s5
	s_delay_alu instid0(VALU_DEP_1) | instskip(SKIP_2) | instid1(VALU_DEP_1)
	v_and_b32_e32 v7, 0xffff0000, v8
	s_wait_loadcnt 0x0
	v_lshlrev_b32_e32 v6, 16, v6
	v_add_f32_e32 v6, v6, v7
	s_delay_alu instid0(VALU_DEP_1) | instskip(NEXT) | instid1(VALU_DEP_1)
	v_and_b32_e32 v7, 0x7f800000, v6
	v_cmp_ne_u32_e32 vcc_lo, 0x7f800000, v7
                                        ; implicit-def: $vgpr7
	s_and_saveexec_b32 s5, vcc_lo
	s_delay_alu instid0(SALU_CYCLE_1)
	s_xor_b32 s5, exec_lo, s5
; %bb.10:                               ;   in Loop: Header=BB129_4 Depth=1
	v_bfe_u32 v7, v6, 16, 1
	s_delay_alu instid0(VALU_DEP_1)
	v_add3_u32 v7, v6, v7, 0x7fff
                                        ; implicit-def: $vgpr6
; %bb.11:                               ;   in Loop: Header=BB129_4 Depth=1
	s_and_not1_saveexec_b32 s5, s5
	s_cbranch_execz .LBB129_2
; %bb.12:                               ;   in Loop: Header=BB129_4 Depth=1
	v_and_b32_e32 v7, 0xffff, v6
	v_or_b32_e32 v8, 0x10000, v6
	s_delay_alu instid0(VALU_DEP_2) | instskip(NEXT) | instid1(VALU_DEP_2)
	v_cmp_eq_u32_e32 vcc_lo, 0, v7
	v_cndmask_b32_e32 v7, v8, v6, vcc_lo
	s_branch .LBB129_2
.LBB129_13:
	s_endpgm
	.section	.rodata,"a",@progbits
	.p2align	6, 0x0
	.amdhsa_kernel _ZL19rocblas_axpy_kernelIiLi256Ef16rocblas_bfloat16PKS0_PS0_EviT2_lT3_lT_lT4_lS6_li
		.amdhsa_group_segment_fixed_size 0
		.amdhsa_private_segment_fixed_size 0
		.amdhsa_kernarg_size 84
		.amdhsa_user_sgpr_count 2
		.amdhsa_user_sgpr_dispatch_ptr 0
		.amdhsa_user_sgpr_queue_ptr 0
		.amdhsa_user_sgpr_kernarg_segment_ptr 1
		.amdhsa_user_sgpr_dispatch_id 0
		.amdhsa_user_sgpr_kernarg_preload_length 0
		.amdhsa_user_sgpr_kernarg_preload_offset 0
		.amdhsa_user_sgpr_private_segment_size 0
		.amdhsa_wavefront_size32 1
		.amdhsa_uses_dynamic_stack 0
		.amdhsa_enable_private_segment 0
		.amdhsa_system_sgpr_workgroup_id_x 1
		.amdhsa_system_sgpr_workgroup_id_y 0
		.amdhsa_system_sgpr_workgroup_id_z 1
		.amdhsa_system_sgpr_workgroup_info 0
		.amdhsa_system_vgpr_workitem_id 0
		.amdhsa_next_free_vgpr 10
		.amdhsa_next_free_sgpr 22
		.amdhsa_named_barrier_count 0
		.amdhsa_reserve_vcc 1
		.amdhsa_float_round_mode_32 0
		.amdhsa_float_round_mode_16_64 0
		.amdhsa_float_denorm_mode_32 3
		.amdhsa_float_denorm_mode_16_64 3
		.amdhsa_fp16_overflow 0
		.amdhsa_memory_ordered 1
		.amdhsa_forward_progress 1
		.amdhsa_inst_pref_size 5
		.amdhsa_round_robin_scheduling 0
		.amdhsa_exception_fp_ieee_invalid_op 0
		.amdhsa_exception_fp_denorm_src 0
		.amdhsa_exception_fp_ieee_div_zero 0
		.amdhsa_exception_fp_ieee_overflow 0
		.amdhsa_exception_fp_ieee_underflow 0
		.amdhsa_exception_fp_ieee_inexact 0
		.amdhsa_exception_int_div_zero 0
	.end_amdhsa_kernel
	.section	.text._ZL19rocblas_axpy_kernelIiLi256Ef16rocblas_bfloat16PKS0_PS0_EviT2_lT3_lT_lT4_lS6_li,"axG",@progbits,_ZL19rocblas_axpy_kernelIiLi256Ef16rocblas_bfloat16PKS0_PS0_EviT2_lT3_lT_lT4_lS6_li,comdat
.Lfunc_end129:
	.size	_ZL19rocblas_axpy_kernelIiLi256Ef16rocblas_bfloat16PKS0_PS0_EviT2_lT3_lT_lT4_lS6_li, .Lfunc_end129-_ZL19rocblas_axpy_kernelIiLi256Ef16rocblas_bfloat16PKS0_PS0_EviT2_lT3_lT_lT4_lS6_li
                                        ; -- End function
	.set _ZL19rocblas_axpy_kernelIiLi256Ef16rocblas_bfloat16PKS0_PS0_EviT2_lT3_lT_lT4_lS6_li.num_vgpr, 10
	.set _ZL19rocblas_axpy_kernelIiLi256Ef16rocblas_bfloat16PKS0_PS0_EviT2_lT3_lT_lT4_lS6_li.num_agpr, 0
	.set _ZL19rocblas_axpy_kernelIiLi256Ef16rocblas_bfloat16PKS0_PS0_EviT2_lT3_lT_lT4_lS6_li.numbered_sgpr, 22
	.set _ZL19rocblas_axpy_kernelIiLi256Ef16rocblas_bfloat16PKS0_PS0_EviT2_lT3_lT_lT4_lS6_li.num_named_barrier, 0
	.set _ZL19rocblas_axpy_kernelIiLi256Ef16rocblas_bfloat16PKS0_PS0_EviT2_lT3_lT_lT4_lS6_li.private_seg_size, 0
	.set _ZL19rocblas_axpy_kernelIiLi256Ef16rocblas_bfloat16PKS0_PS0_EviT2_lT3_lT_lT4_lS6_li.uses_vcc, 1
	.set _ZL19rocblas_axpy_kernelIiLi256Ef16rocblas_bfloat16PKS0_PS0_EviT2_lT3_lT_lT4_lS6_li.uses_flat_scratch, 0
	.set _ZL19rocblas_axpy_kernelIiLi256Ef16rocblas_bfloat16PKS0_PS0_EviT2_lT3_lT_lT4_lS6_li.has_dyn_sized_stack, 0
	.set _ZL19rocblas_axpy_kernelIiLi256Ef16rocblas_bfloat16PKS0_PS0_EviT2_lT3_lT_lT4_lS6_li.has_recursion, 0
	.set _ZL19rocblas_axpy_kernelIiLi256Ef16rocblas_bfloat16PKS0_PS0_EviT2_lT3_lT_lT4_lS6_li.has_indirect_call, 0
	.section	.AMDGPU.csdata,"",@progbits
; Kernel info:
; codeLenInByte = 624
; TotalNumSgprs: 24
; NumVgprs: 10
; ScratchSize: 0
; MemoryBound: 0
; FloatMode: 240
; IeeeMode: 1
; LDSByteSize: 0 bytes/workgroup (compile time only)
; SGPRBlocks: 0
; VGPRBlocks: 0
; NumSGPRsForWavesPerEU: 24
; NumVGPRsForWavesPerEU: 10
; NamedBarCnt: 0
; Occupancy: 16
; WaveLimiterHint : 0
; COMPUTE_PGM_RSRC2:SCRATCH_EN: 0
; COMPUTE_PGM_RSRC2:USER_SGPR: 2
; COMPUTE_PGM_RSRC2:TRAP_HANDLER: 0
; COMPUTE_PGM_RSRC2:TGID_X_EN: 1
; COMPUTE_PGM_RSRC2:TGID_Y_EN: 0
; COMPUTE_PGM_RSRC2:TGID_Z_EN: 1
; COMPUTE_PGM_RSRC2:TIDIG_COMP_CNT: 0
	.section	.text._ZL19rocblas_axpy_kernelIlLi256EfPK16rocblas_bfloat16S2_PS0_EviT2_lT3_lT_lT4_lS6_li,"axG",@progbits,_ZL19rocblas_axpy_kernelIlLi256EfPK16rocblas_bfloat16S2_PS0_EviT2_lT3_lT_lT4_lS6_li,comdat
	.globl	_ZL19rocblas_axpy_kernelIlLi256EfPK16rocblas_bfloat16S2_PS0_EviT2_lT3_lT_lT4_lS6_li ; -- Begin function _ZL19rocblas_axpy_kernelIlLi256EfPK16rocblas_bfloat16S2_PS0_EviT2_lT3_lT_lT4_lS6_li
	.p2align	8
	.type	_ZL19rocblas_axpy_kernelIlLi256EfPK16rocblas_bfloat16S2_PS0_EviT2_lT3_lT_lT4_lS6_li,@function
_ZL19rocblas_axpy_kernelIlLi256EfPK16rocblas_bfloat16S2_PS0_EviT2_lT3_lT_lT4_lS6_li: ; @_ZL19rocblas_axpy_kernelIlLi256EfPK16rocblas_bfloat16S2_PS0_EviT2_lT3_lT_lT4_lS6_li
; %bb.0:
	s_load_b32 s16, s[0:1], 0x58
	s_bfe_u32 s2, ttmp6, 0x40014
	s_lshr_b32 s3, ttmp7, 16
	s_add_co_i32 s2, s2, 1
	s_bfe_u32 s4, ttmp6, 0x40008
	s_mul_i32 s2, s3, s2
	s_getreg_b32 s17, hwreg(HW_REG_IB_STS2, 6, 4)
	s_add_co_i32 s4, s4, s2
	s_cmp_eq_u32 s17, 0
	s_cselect_b32 s2, s3, s4
	s_mov_b32 s3, 0
	s_wait_kmcnt 0x0
	s_cmp_ge_u32 s2, s16
	s_cbranch_scc1 .LBB130_13
; %bb.1:
	s_clause 0x2
	s_load_b32 s18, s[0:1], 0x0
	s_load_b256 s[4:11], s[0:1], 0x30
	s_load_b128 s[20:23], s[0:1], 0x20
	s_bfe_u32 s12, ttmp6, 0x4000c
	s_and_b32 s19, ttmp6, 15
	s_add_co_i32 s12, s12, 1
	v_mov_b32_e32 v1, 0
	s_mul_i32 s24, ttmp9, s12
	s_load_b128 s[12:15], s[0:1], 0x8
	s_add_co_i32 s26, s19, s24
	s_wait_kmcnt 0x0
	s_ashr_i32 s19, s18, 31
	s_lshl_b64 s[24:25], s[8:9], 1
	s_lshl_b64 s[20:21], s[20:21], 1
	s_cmp_eq_u32 s17, 0
	s_cselect_b32 s8, ttmp9, s26
	s_delay_alu instid0(SALU_CYCLE_1) | instskip(NEXT) | instid1(VALU_DEP_1)
	v_lshl_or_b32 v0, s8, 8, v0
	v_mul_u64_e32 v[2:3], s[22:23], v[0:1]
	v_mul_u64_e32 v[4:5], s[10:11], v[0:1]
	s_clause 0x1
	s_load_b64 s[10:11], s[0:1], 0x18
	s_load_b64 s[8:9], s[0:1], 0x50
	s_wait_xcnt 0x0
	s_add_nc_u64 s[0:1], s[6:7], s[24:25]
	v_cmp_gt_i64_e32 vcc_lo, s[18:19], v[0:1]
	s_wait_kmcnt 0x0
	s_add_nc_u64 s[6:7], s[10:11], s[20:21]
	s_delay_alu instid0(VALU_DEP_3) | instid1(SALU_CYCLE_1)
	v_lshl_add_u64 v[2:3], v[2:3], 1, s[6:7]
	s_delay_alu instid0(VALU_DEP_3)
	v_lshl_add_u64 v[4:5], v[4:5], 1, s[0:1]
	s_branch .LBB130_4
.LBB130_2:                              ;   in Loop: Header=BB130_4 Depth=1
	s_or_b32 exec_lo, exec_lo, s6
	global_store_d16_hi_b16 v[6:7], v8, off
.LBB130_3:                              ;   in Loop: Header=BB130_4 Depth=1
	s_wait_xcnt 0x0
	s_or_b32 exec_lo, exec_lo, s1
	s_add_co_i32 s2, s2, 0x10000
	s_delay_alu instid0(SALU_CYCLE_1)
	s_cmp_lt_u32 s2, s16
	s_cbranch_scc0 .LBB130_13
.LBB130_4:                              ; =>This Inner Loop Header: Depth=1
	s_mul_u64 s[0:1], s[14:15], s[2:3]
	s_delay_alu instid0(SALU_CYCLE_1) | instskip(NEXT) | instid1(SALU_CYCLE_1)
	s_lshl_b64 s[0:1], s[0:1], 1
	s_add_nc_u64 s[0:1], s[12:13], s[0:1]
	global_load_u16 v8, v1, s[0:1]
	s_wait_loadcnt 0x0
	s_wait_xcnt 0x0
	v_readfirstlane_b32 s0, v8
	s_and_b32 s0, s0, 0x7fff
	s_delay_alu instid0(SALU_CYCLE_1) | instskip(SKIP_1) | instid1(SALU_CYCLE_1)
	s_cmp_lg_u32 s0, 0
	s_cselect_b32 s0, -1, 0
	s_and_b32 s0, vcc_lo, s0
	s_delay_alu instid0(SALU_CYCLE_1)
	s_and_saveexec_b32 s1, s0
	s_cbranch_execz .LBB130_3
; %bb.5:                                ;   in Loop: Header=BB130_4 Depth=1
	s_mul_u64 s[6:7], s[4:5], s[2:3]
	v_lshlrev_b32_e32 v8, 16, v8
	v_lshl_add_u64 v[6:7], s[6:7], 1, v[2:3]
	s_mul_u64 s[6:7], s[8:9], s[2:3]
	global_load_u16 v9, v[6:7], off
	s_wait_xcnt 0x0
	v_lshl_add_u64 v[6:7], s[6:7], 1, v[4:5]
	global_load_u16 v0, v[6:7], off
	s_wait_loadcnt 0x1
	v_lshlrev_b32_e32 v9, 16, v9
	s_delay_alu instid0(VALU_DEP_1) | instskip(NEXT) | instid1(VALU_DEP_1)
	v_mul_f32_e32 v8, v9, v8
	v_and_b32_e32 v9, 0x7f800000, v8
	s_delay_alu instid0(VALU_DEP_1) | instskip(SKIP_2) | instid1(SALU_CYCLE_1)
	v_cmp_ne_u32_e64 s0, 0x7f800000, v9
                                        ; implicit-def: $vgpr9
	s_wait_xcnt 0x0
	s_and_saveexec_b32 s6, s0
	s_xor_b32 s0, exec_lo, s6
; %bb.6:                                ;   in Loop: Header=BB130_4 Depth=1
	v_bfe_u32 v9, v8, 16, 1
	s_delay_alu instid0(VALU_DEP_1)
	v_add3_u32 v9, v8, v9, 0x7fff
                                        ; implicit-def: $vgpr8
; %bb.7:                                ;   in Loop: Header=BB130_4 Depth=1
	s_and_not1_saveexec_b32 s6, s0
; %bb.8:                                ;   in Loop: Header=BB130_4 Depth=1
	v_and_b32_e32 v9, 0xffff, v8
	v_or_b32_e32 v10, 0x10000, v8
	s_delay_alu instid0(VALU_DEP_2) | instskip(NEXT) | instid1(VALU_DEP_1)
	v_cmp_eq_u32_e64 s0, 0, v9
	v_cndmask_b32_e64 v9, v10, v8, s0
; %bb.9:                                ;   in Loop: Header=BB130_4 Depth=1
	s_or_b32 exec_lo, exec_lo, s6
	s_delay_alu instid0(VALU_DEP_1) | instskip(SKIP_2) | instid1(VALU_DEP_1)
	v_and_b32_e32 v8, 0xffff0000, v9
	s_wait_loadcnt 0x0
	v_lshlrev_b32_e32 v0, 16, v0
	v_add_f32_e32 v0, v0, v8
	s_delay_alu instid0(VALU_DEP_1) | instskip(NEXT) | instid1(VALU_DEP_1)
	v_and_b32_e32 v8, 0x7f800000, v0
	v_cmp_ne_u32_e64 s0, 0x7f800000, v8
                                        ; implicit-def: $vgpr8
	s_and_saveexec_b32 s6, s0
	s_delay_alu instid0(SALU_CYCLE_1)
	s_xor_b32 s0, exec_lo, s6
; %bb.10:                               ;   in Loop: Header=BB130_4 Depth=1
	v_bfe_u32 v8, v0, 16, 1
	s_delay_alu instid0(VALU_DEP_1)
	v_add3_u32 v8, v0, v8, 0x7fff
                                        ; implicit-def: $vgpr0
; %bb.11:                               ;   in Loop: Header=BB130_4 Depth=1
	s_and_not1_saveexec_b32 s6, s0
	s_cbranch_execz .LBB130_2
; %bb.12:                               ;   in Loop: Header=BB130_4 Depth=1
	v_and_b32_e32 v8, 0xffff, v0
	v_or_b32_e32 v9, 0x10000, v0
	s_delay_alu instid0(VALU_DEP_2) | instskip(NEXT) | instid1(VALU_DEP_1)
	v_cmp_eq_u32_e64 s0, 0, v8
	v_cndmask_b32_e64 v8, v9, v0, s0
	s_branch .LBB130_2
.LBB130_13:
	s_endpgm
	.section	.rodata,"a",@progbits
	.p2align	6, 0x0
	.amdhsa_kernel _ZL19rocblas_axpy_kernelIlLi256EfPK16rocblas_bfloat16S2_PS0_EviT2_lT3_lT_lT4_lS6_li
		.amdhsa_group_segment_fixed_size 0
		.amdhsa_private_segment_fixed_size 0
		.amdhsa_kernarg_size 92
		.amdhsa_user_sgpr_count 2
		.amdhsa_user_sgpr_dispatch_ptr 0
		.amdhsa_user_sgpr_queue_ptr 0
		.amdhsa_user_sgpr_kernarg_segment_ptr 1
		.amdhsa_user_sgpr_dispatch_id 0
		.amdhsa_user_sgpr_kernarg_preload_length 0
		.amdhsa_user_sgpr_kernarg_preload_offset 0
		.amdhsa_user_sgpr_private_segment_size 0
		.amdhsa_wavefront_size32 1
		.amdhsa_uses_dynamic_stack 0
		.amdhsa_enable_private_segment 0
		.amdhsa_system_sgpr_workgroup_id_x 1
		.amdhsa_system_sgpr_workgroup_id_y 0
		.amdhsa_system_sgpr_workgroup_id_z 1
		.amdhsa_system_sgpr_workgroup_info 0
		.amdhsa_system_vgpr_workitem_id 0
		.amdhsa_next_free_vgpr 11
		.amdhsa_next_free_sgpr 27
		.amdhsa_named_barrier_count 0
		.amdhsa_reserve_vcc 1
		.amdhsa_float_round_mode_32 0
		.amdhsa_float_round_mode_16_64 0
		.amdhsa_float_denorm_mode_32 3
		.amdhsa_float_denorm_mode_16_64 3
		.amdhsa_fp16_overflow 0
		.amdhsa_memory_ordered 1
		.amdhsa_forward_progress 1
		.amdhsa_inst_pref_size 6
		.amdhsa_round_robin_scheduling 0
		.amdhsa_exception_fp_ieee_invalid_op 0
		.amdhsa_exception_fp_denorm_src 0
		.amdhsa_exception_fp_ieee_div_zero 0
		.amdhsa_exception_fp_ieee_overflow 0
		.amdhsa_exception_fp_ieee_underflow 0
		.amdhsa_exception_fp_ieee_inexact 0
		.amdhsa_exception_int_div_zero 0
	.end_amdhsa_kernel
	.section	.text._ZL19rocblas_axpy_kernelIlLi256EfPK16rocblas_bfloat16S2_PS0_EviT2_lT3_lT_lT4_lS6_li,"axG",@progbits,_ZL19rocblas_axpy_kernelIlLi256EfPK16rocblas_bfloat16S2_PS0_EviT2_lT3_lT_lT4_lS6_li,comdat
.Lfunc_end130:
	.size	_ZL19rocblas_axpy_kernelIlLi256EfPK16rocblas_bfloat16S2_PS0_EviT2_lT3_lT_lT4_lS6_li, .Lfunc_end130-_ZL19rocblas_axpy_kernelIlLi256EfPK16rocblas_bfloat16S2_PS0_EviT2_lT3_lT_lT4_lS6_li
                                        ; -- End function
	.set _ZL19rocblas_axpy_kernelIlLi256EfPK16rocblas_bfloat16S2_PS0_EviT2_lT3_lT_lT4_lS6_li.num_vgpr, 11
	.set _ZL19rocblas_axpy_kernelIlLi256EfPK16rocblas_bfloat16S2_PS0_EviT2_lT3_lT_lT4_lS6_li.num_agpr, 0
	.set _ZL19rocblas_axpy_kernelIlLi256EfPK16rocblas_bfloat16S2_PS0_EviT2_lT3_lT_lT4_lS6_li.numbered_sgpr, 27
	.set _ZL19rocblas_axpy_kernelIlLi256EfPK16rocblas_bfloat16S2_PS0_EviT2_lT3_lT_lT4_lS6_li.num_named_barrier, 0
	.set _ZL19rocblas_axpy_kernelIlLi256EfPK16rocblas_bfloat16S2_PS0_EviT2_lT3_lT_lT4_lS6_li.private_seg_size, 0
	.set _ZL19rocblas_axpy_kernelIlLi256EfPK16rocblas_bfloat16S2_PS0_EviT2_lT3_lT_lT4_lS6_li.uses_vcc, 1
	.set _ZL19rocblas_axpy_kernelIlLi256EfPK16rocblas_bfloat16S2_PS0_EviT2_lT3_lT_lT4_lS6_li.uses_flat_scratch, 0
	.set _ZL19rocblas_axpy_kernelIlLi256EfPK16rocblas_bfloat16S2_PS0_EviT2_lT3_lT_lT4_lS6_li.has_dyn_sized_stack, 0
	.set _ZL19rocblas_axpy_kernelIlLi256EfPK16rocblas_bfloat16S2_PS0_EviT2_lT3_lT_lT4_lS6_li.has_recursion, 0
	.set _ZL19rocblas_axpy_kernelIlLi256EfPK16rocblas_bfloat16S2_PS0_EviT2_lT3_lT_lT4_lS6_li.has_indirect_call, 0
	.section	.AMDGPU.csdata,"",@progbits
; Kernel info:
; codeLenInByte = 676
; TotalNumSgprs: 29
; NumVgprs: 11
; ScratchSize: 0
; MemoryBound: 0
; FloatMode: 240
; IeeeMode: 1
; LDSByteSize: 0 bytes/workgroup (compile time only)
; SGPRBlocks: 0
; VGPRBlocks: 0
; NumSGPRsForWavesPerEU: 29
; NumVGPRsForWavesPerEU: 11
; NamedBarCnt: 0
; Occupancy: 16
; WaveLimiterHint : 0
; COMPUTE_PGM_RSRC2:SCRATCH_EN: 0
; COMPUTE_PGM_RSRC2:USER_SGPR: 2
; COMPUTE_PGM_RSRC2:TRAP_HANDLER: 0
; COMPUTE_PGM_RSRC2:TGID_X_EN: 1
; COMPUTE_PGM_RSRC2:TGID_Y_EN: 0
; COMPUTE_PGM_RSRC2:TGID_Z_EN: 1
; COMPUTE_PGM_RSRC2:TIDIG_COMP_CNT: 0
	.section	.text._ZL19rocblas_axpy_kernelIlLi256Ef16rocblas_bfloat16PKS0_PS0_EviT2_lT3_lT_lT4_lS6_li,"axG",@progbits,_ZL19rocblas_axpy_kernelIlLi256Ef16rocblas_bfloat16PKS0_PS0_EviT2_lT3_lT_lT4_lS6_li,comdat
	.globl	_ZL19rocblas_axpy_kernelIlLi256Ef16rocblas_bfloat16PKS0_PS0_EviT2_lT3_lT_lT4_lS6_li ; -- Begin function _ZL19rocblas_axpy_kernelIlLi256Ef16rocblas_bfloat16PKS0_PS0_EviT2_lT3_lT_lT4_lS6_li
	.p2align	8
	.type	_ZL19rocblas_axpy_kernelIlLi256Ef16rocblas_bfloat16PKS0_PS0_EviT2_lT3_lT_lT4_lS6_li,@function
_ZL19rocblas_axpy_kernelIlLi256Ef16rocblas_bfloat16PKS0_PS0_EviT2_lT3_lT_lT4_lS6_li: ; @_ZL19rocblas_axpy_kernelIlLi256Ef16rocblas_bfloat16PKS0_PS0_EviT2_lT3_lT_lT4_lS6_li
; %bb.0:
	s_load_b32 s12, s[0:1], 0x50
	s_bfe_u32 s2, ttmp6, 0x40014
	s_lshr_b32 s3, ttmp7, 16
	s_add_co_i32 s2, s2, 1
	s_bfe_u32 s4, ttmp6, 0x40008
	s_mul_i32 s2, s3, s2
	s_getreg_b32 s13, hwreg(HW_REG_IB_STS2, 6, 4)
	s_add_co_i32 s4, s4, s2
	s_cmp_eq_u32 s13, 0
	s_cselect_b32 s2, s3, s4
	s_mov_b32 s3, 0
	s_wait_kmcnt 0x0
	s_cmp_ge_u32 s2, s12
	s_cbranch_scc1 .LBB131_13
; %bb.1:
	s_clause 0x1
	s_load_b256 s[4:11], s[0:1], 0x28
	s_load_b128 s[16:19], s[0:1], 0x18
	s_bfe_u32 s14, ttmp6, 0x4000c
	s_and_b32 s15, ttmp6, 15
	s_add_co_i32 s14, s14, 1
	v_mov_b32_e32 v1, 0
	s_mul_i32 s14, ttmp9, s14
	s_delay_alu instid0(SALU_CYCLE_1)
	s_add_co_i32 s20, s15, s14
	s_wait_kmcnt 0x0
	s_lshl_b64 s[14:15], s[8:9], 1
	s_lshl_b64 s[16:17], s[16:17], 1
	s_cmp_eq_u32 s13, 0
	s_add_nc_u64 s[6:7], s[6:7], s[14:15]
	s_cselect_b32 s8, ttmp9, s20
	s_delay_alu instid0(SALU_CYCLE_1) | instskip(NEXT) | instid1(VALU_DEP_1)
	v_lshl_or_b32 v0, s8, 8, v0
	v_mul_u64_e32 v[2:3], s[18:19], v[0:1]
	v_mul_u64_e32 v[4:5], s[10:11], v[0:1]
	s_clause 0x2
	s_load_b64 s[10:11], s[0:1], 0x0
	s_load_b64 s[18:19], s[0:1], 0x10
	;; [unrolled: 1-line block ×3, first 2 shown]
	s_wait_kmcnt 0x0
	s_and_b32 s0, s11, 0x7fff
	s_delay_alu instid0(SALU_CYCLE_1) | instskip(SKIP_3) | instid1(SALU_CYCLE_1)
	s_cmp_lg_u32 s0, 0
	s_mov_b32 s0, s10
	s_cselect_b32 s13, -1, 0
	s_ashr_i32 s1, s10, 31
	v_cmp_gt_i64_e32 vcc_lo, s[0:1], v[0:1]
	s_add_nc_u64 s[0:1], s[18:19], s[16:17]
	s_delay_alu instid0(VALU_DEP_3) | instid1(SALU_CYCLE_1)
	v_lshl_add_u64 v[0:1], v[2:3], 1, s[0:1]
	s_delay_alu instid0(VALU_DEP_3)
	v_lshl_add_u64 v[2:3], v[4:5], 1, s[6:7]
	s_and_b32 s0, vcc_lo, s13
	s_lshl_b32 s1, s11, 16
	s_branch .LBB131_4
.LBB131_2:                              ;   in Loop: Header=BB131_4 Depth=1
	s_or_b32 exec_lo, exec_lo, s7
	global_store_d16_hi_b16 v[4:5], v7, off
.LBB131_3:                              ;   in Loop: Header=BB131_4 Depth=1
	s_wait_xcnt 0x0
	s_or_b32 exec_lo, exec_lo, s6
	s_add_co_i32 s2, s2, 0x10000
	s_delay_alu instid0(SALU_CYCLE_1)
	s_cmp_lt_u32 s2, s12
	s_cbranch_scc0 .LBB131_13
.LBB131_4:                              ; =>This Inner Loop Header: Depth=1
	s_and_saveexec_b32 s6, s0
	s_cbranch_execz .LBB131_3
; %bb.5:                                ;   in Loop: Header=BB131_4 Depth=1
	s_mul_u64 s[10:11], s[4:5], s[2:3]
	s_delay_alu instid0(SALU_CYCLE_1)
	v_lshl_add_u64 v[4:5], s[10:11], 1, v[0:1]
	s_mul_u64 s[10:11], s[8:9], s[2:3]
	global_load_u16 v7, v[4:5], off
	s_wait_xcnt 0x0
	v_lshl_add_u64 v[4:5], s[10:11], 1, v[2:3]
	global_load_u16 v6, v[4:5], off
	s_wait_loadcnt 0x1
	v_lshlrev_b32_e32 v7, 16, v7
	s_delay_alu instid0(VALU_DEP_1) | instskip(NEXT) | instid1(VALU_DEP_1)
	v_mul_f32_e32 v7, s1, v7
	v_and_b32_e32 v8, 0x7f800000, v7
	s_delay_alu instid0(VALU_DEP_1) | instskip(SKIP_2) | instid1(SALU_CYCLE_1)
	v_cmp_ne_u32_e32 vcc_lo, 0x7f800000, v8
                                        ; implicit-def: $vgpr8
	s_wait_xcnt 0x0
	s_and_saveexec_b32 s7, vcc_lo
	s_xor_b32 s7, exec_lo, s7
; %bb.6:                                ;   in Loop: Header=BB131_4 Depth=1
	v_bfe_u32 v8, v7, 16, 1
	s_delay_alu instid0(VALU_DEP_1)
	v_add3_u32 v8, v7, v8, 0x7fff
                                        ; implicit-def: $vgpr7
; %bb.7:                                ;   in Loop: Header=BB131_4 Depth=1
	s_and_not1_saveexec_b32 s7, s7
; %bb.8:                                ;   in Loop: Header=BB131_4 Depth=1
	v_and_b32_e32 v8, 0xffff, v7
	v_or_b32_e32 v9, 0x10000, v7
	s_delay_alu instid0(VALU_DEP_2) | instskip(NEXT) | instid1(VALU_DEP_2)
	v_cmp_eq_u32_e32 vcc_lo, 0, v8
	v_cndmask_b32_e32 v8, v9, v7, vcc_lo
; %bb.9:                                ;   in Loop: Header=BB131_4 Depth=1
	s_or_b32 exec_lo, exec_lo, s7
	s_delay_alu instid0(VALU_DEP_1) | instskip(SKIP_2) | instid1(VALU_DEP_1)
	v_and_b32_e32 v7, 0xffff0000, v8
	s_wait_loadcnt 0x0
	v_lshlrev_b32_e32 v6, 16, v6
	v_add_f32_e32 v6, v6, v7
	s_delay_alu instid0(VALU_DEP_1) | instskip(NEXT) | instid1(VALU_DEP_1)
	v_and_b32_e32 v7, 0x7f800000, v6
	v_cmp_ne_u32_e32 vcc_lo, 0x7f800000, v7
                                        ; implicit-def: $vgpr7
	s_and_saveexec_b32 s7, vcc_lo
	s_delay_alu instid0(SALU_CYCLE_1)
	s_xor_b32 s7, exec_lo, s7
; %bb.10:                               ;   in Loop: Header=BB131_4 Depth=1
	v_bfe_u32 v7, v6, 16, 1
	s_delay_alu instid0(VALU_DEP_1)
	v_add3_u32 v7, v6, v7, 0x7fff
                                        ; implicit-def: $vgpr6
; %bb.11:                               ;   in Loop: Header=BB131_4 Depth=1
	s_and_not1_saveexec_b32 s7, s7
	s_cbranch_execz .LBB131_2
; %bb.12:                               ;   in Loop: Header=BB131_4 Depth=1
	v_and_b32_e32 v7, 0xffff, v6
	v_or_b32_e32 v8, 0x10000, v6
	s_delay_alu instid0(VALU_DEP_2) | instskip(NEXT) | instid1(VALU_DEP_2)
	v_cmp_eq_u32_e32 vcc_lo, 0, v7
	v_cndmask_b32_e32 v7, v8, v6, vcc_lo
	s_branch .LBB131_2
.LBB131_13:
	s_endpgm
	.section	.rodata,"a",@progbits
	.p2align	6, 0x0
	.amdhsa_kernel _ZL19rocblas_axpy_kernelIlLi256Ef16rocblas_bfloat16PKS0_PS0_EviT2_lT3_lT_lT4_lS6_li
		.amdhsa_group_segment_fixed_size 0
		.amdhsa_private_segment_fixed_size 0
		.amdhsa_kernarg_size 84
		.amdhsa_user_sgpr_count 2
		.amdhsa_user_sgpr_dispatch_ptr 0
		.amdhsa_user_sgpr_queue_ptr 0
		.amdhsa_user_sgpr_kernarg_segment_ptr 1
		.amdhsa_user_sgpr_dispatch_id 0
		.amdhsa_user_sgpr_kernarg_preload_length 0
		.amdhsa_user_sgpr_kernarg_preload_offset 0
		.amdhsa_user_sgpr_private_segment_size 0
		.amdhsa_wavefront_size32 1
		.amdhsa_uses_dynamic_stack 0
		.amdhsa_enable_private_segment 0
		.amdhsa_system_sgpr_workgroup_id_x 1
		.amdhsa_system_sgpr_workgroup_id_y 0
		.amdhsa_system_sgpr_workgroup_id_z 1
		.amdhsa_system_sgpr_workgroup_info 0
		.amdhsa_system_vgpr_workitem_id 0
		.amdhsa_next_free_vgpr 10
		.amdhsa_next_free_sgpr 21
		.amdhsa_named_barrier_count 0
		.amdhsa_reserve_vcc 1
		.amdhsa_float_round_mode_32 0
		.amdhsa_float_round_mode_16_64 0
		.amdhsa_float_denorm_mode_32 3
		.amdhsa_float_denorm_mode_16_64 3
		.amdhsa_fp16_overflow 0
		.amdhsa_memory_ordered 1
		.amdhsa_forward_progress 1
		.amdhsa_inst_pref_size 5
		.amdhsa_round_robin_scheduling 0
		.amdhsa_exception_fp_ieee_invalid_op 0
		.amdhsa_exception_fp_denorm_src 0
		.amdhsa_exception_fp_ieee_div_zero 0
		.amdhsa_exception_fp_ieee_overflow 0
		.amdhsa_exception_fp_ieee_underflow 0
		.amdhsa_exception_fp_ieee_inexact 0
		.amdhsa_exception_int_div_zero 0
	.end_amdhsa_kernel
	.section	.text._ZL19rocblas_axpy_kernelIlLi256Ef16rocblas_bfloat16PKS0_PS0_EviT2_lT3_lT_lT4_lS6_li,"axG",@progbits,_ZL19rocblas_axpy_kernelIlLi256Ef16rocblas_bfloat16PKS0_PS0_EviT2_lT3_lT_lT4_lS6_li,comdat
.Lfunc_end131:
	.size	_ZL19rocblas_axpy_kernelIlLi256Ef16rocblas_bfloat16PKS0_PS0_EviT2_lT3_lT_lT4_lS6_li, .Lfunc_end131-_ZL19rocblas_axpy_kernelIlLi256Ef16rocblas_bfloat16PKS0_PS0_EviT2_lT3_lT_lT4_lS6_li
                                        ; -- End function
	.set _ZL19rocblas_axpy_kernelIlLi256Ef16rocblas_bfloat16PKS0_PS0_EviT2_lT3_lT_lT4_lS6_li.num_vgpr, 10
	.set _ZL19rocblas_axpy_kernelIlLi256Ef16rocblas_bfloat16PKS0_PS0_EviT2_lT3_lT_lT4_lS6_li.num_agpr, 0
	.set _ZL19rocblas_axpy_kernelIlLi256Ef16rocblas_bfloat16PKS0_PS0_EviT2_lT3_lT_lT4_lS6_li.numbered_sgpr, 21
	.set _ZL19rocblas_axpy_kernelIlLi256Ef16rocblas_bfloat16PKS0_PS0_EviT2_lT3_lT_lT4_lS6_li.num_named_barrier, 0
	.set _ZL19rocblas_axpy_kernelIlLi256Ef16rocblas_bfloat16PKS0_PS0_EviT2_lT3_lT_lT4_lS6_li.private_seg_size, 0
	.set _ZL19rocblas_axpy_kernelIlLi256Ef16rocblas_bfloat16PKS0_PS0_EviT2_lT3_lT_lT4_lS6_li.uses_vcc, 1
	.set _ZL19rocblas_axpy_kernelIlLi256Ef16rocblas_bfloat16PKS0_PS0_EviT2_lT3_lT_lT4_lS6_li.uses_flat_scratch, 0
	.set _ZL19rocblas_axpy_kernelIlLi256Ef16rocblas_bfloat16PKS0_PS0_EviT2_lT3_lT_lT4_lS6_li.has_dyn_sized_stack, 0
	.set _ZL19rocblas_axpy_kernelIlLi256Ef16rocblas_bfloat16PKS0_PS0_EviT2_lT3_lT_lT4_lS6_li.has_recursion, 0
	.set _ZL19rocblas_axpy_kernelIlLi256Ef16rocblas_bfloat16PKS0_PS0_EviT2_lT3_lT_lT4_lS6_li.has_indirect_call, 0
	.section	.AMDGPU.csdata,"",@progbits
; Kernel info:
; codeLenInByte = 608
; TotalNumSgprs: 23
; NumVgprs: 10
; ScratchSize: 0
; MemoryBound: 0
; FloatMode: 240
; IeeeMode: 1
; LDSByteSize: 0 bytes/workgroup (compile time only)
; SGPRBlocks: 0
; VGPRBlocks: 0
; NumSGPRsForWavesPerEU: 23
; NumVGPRsForWavesPerEU: 10
; NamedBarCnt: 0
; Occupancy: 16
; WaveLimiterHint : 0
; COMPUTE_PGM_RSRC2:SCRATCH_EN: 0
; COMPUTE_PGM_RSRC2:USER_SGPR: 2
; COMPUTE_PGM_RSRC2:TRAP_HANDLER: 0
; COMPUTE_PGM_RSRC2:TGID_X_EN: 1
; COMPUTE_PGM_RSRC2:TGID_Y_EN: 0
; COMPUTE_PGM_RSRC2:TGID_Z_EN: 1
; COMPUTE_PGM_RSRC2:TIDIG_COMP_CNT: 0
	.section	.text._ZL26rocblas_haxpy_mod_8_kernelILi256EPKfPK16rocblas_bfloat16PS2_EviT0_lT1_llT2_lli,"axG",@progbits,_ZL26rocblas_haxpy_mod_8_kernelILi256EPKfPK16rocblas_bfloat16PS2_EviT0_lT1_llT2_lli,comdat
	.globl	_ZL26rocblas_haxpy_mod_8_kernelILi256EPKfPK16rocblas_bfloat16PS2_EviT0_lT1_llT2_lli ; -- Begin function _ZL26rocblas_haxpy_mod_8_kernelILi256EPKfPK16rocblas_bfloat16PS2_EviT0_lT1_llT2_lli
	.p2align	8
	.type	_ZL26rocblas_haxpy_mod_8_kernelILi256EPKfPK16rocblas_bfloat16PS2_EviT0_lT1_llT2_lli,@function
_ZL26rocblas_haxpy_mod_8_kernelILi256EPKfPK16rocblas_bfloat16PS2_EviT0_lT1_llT2_lli: ; @_ZL26rocblas_haxpy_mod_8_kernelILi256EPKfPK16rocblas_bfloat16PS2_EviT0_lT1_llT2_lli
; %bb.0:
	s_load_b32 s20, s[0:1], 0x48
	s_bfe_u32 s2, ttmp6, 0x40014
	s_lshr_b32 s3, ttmp7, 16
	s_add_co_i32 s2, s2, 1
	s_bfe_u32 s4, ttmp6, 0x40008
	s_mul_i32 s2, s3, s2
	s_getreg_b32 s21, hwreg(HW_REG_IB_STS2, 6, 4)
	s_add_co_i32 s4, s4, s2
	s_cmp_eq_u32 s21, 0
	s_cselect_b32 s2, s3, s4
	s_mov_b32 s3, 0
	s_wait_kmcnt 0x0
	s_cmp_ge_u32 s2, s20
	s_cbranch_scc1 .LBB132_13
; %bb.1:
	s_clause 0x1
	s_load_b32 s22, s[0:1], 0x0
	s_load_b512 s[4:19], s[0:1], 0x8
	s_wait_xcnt 0x0
	s_bfe_u32 s0, ttmp6, 0x4000c
	s_and_b32 s1, ttmp6, 15
	s_add_co_i32 s0, s0, 1
	v_mov_b32_e32 v5, 0
	s_mul_i32 s0, ttmp9, s0
	s_delay_alu instid0(SALU_CYCLE_1) | instskip(SKIP_4) | instid1(SALU_CYCLE_1)
	s_add_co_i32 s1, s1, s0
	s_wait_kmcnt 0x0
	s_ashr_i32 s23, s22, 31
	s_cmp_eq_u32 s21, 0
	s_cselect_b32 s0, ttmp9, s1
	v_lshl_or_b32 v4, s0, 8, v0
	s_lshl_b64 s[0:1], s[10:11], 1
	s_lshl_b64 s[10:11], s[16:17], 1
	s_add_nc_u64 s[0:1], s[8:9], s[0:1]
	s_add_nc_u64 s[8:9], s[14:15], s[10:11]
	v_lshlrev_b64_e32 v[2:3], 1, v[4:5]
	v_cmp_gt_i64_e32 vcc_lo, s[22:23], v[4:5]
	s_delay_alu instid0(VALU_DEP_2)
	v_add_nc_u64_e32 v[0:1], s[0:1], v[2:3]
	v_add_nc_u64_e32 v[2:3], s[8:9], v[2:3]
	s_branch .LBB132_4
.LBB132_2:                              ;   in Loop: Header=BB132_4 Depth=1
	s_or_b32 exec_lo, exec_lo, s8
	global_store_d16_hi_b16 v[4:5], v7, off
.LBB132_3:                              ;   in Loop: Header=BB132_4 Depth=1
	s_wait_xcnt 0x0
	s_or_b32 exec_lo, exec_lo, s1
	s_add_co_i32 s2, s2, 0x10000
	s_delay_alu instid0(SALU_CYCLE_1)
	s_cmp_lt_u32 s2, s20
	s_cbranch_scc0 .LBB132_13
.LBB132_4:                              ; =>This Inner Loop Header: Depth=1
	s_mul_u64 s[0:1], s[6:7], s[2:3]
	s_delay_alu instid0(SALU_CYCLE_1) | instskip(NEXT) | instid1(SALU_CYCLE_1)
	s_lshl_b64 s[0:1], s[0:1], 2
	s_add_nc_u64 s[0:1], s[4:5], s[0:1]
	s_load_b32 s0, s[0:1], 0x0
	s_wait_kmcnt 0x0
	s_cmp_neq_f32 s0, 0
	s_wait_xcnt 0x0
	s_cselect_b32 s1, -1, 0
	s_delay_alu instid0(SALU_CYCLE_1) | instskip(NEXT) | instid1(SALU_CYCLE_1)
	s_and_b32 s8, vcc_lo, s1
	s_and_saveexec_b32 s1, s8
	s_cbranch_execz .LBB132_3
; %bb.5:                                ;   in Loop: Header=BB132_4 Depth=1
	s_mul_u64 s[8:9], s[12:13], s[2:3]
                                        ; implicit-def: $vgpr6
	s_delay_alu instid0(SALU_CYCLE_1) | instskip(SKIP_4) | instid1(VALU_DEP_1)
	v_lshl_add_u64 v[4:5], s[8:9], 1, v[0:1]
	global_load_u16 v4, v[4:5], off
	s_wait_loadcnt 0x0
	s_wait_xcnt 0x0
	v_lshlrev_b32_e32 v4, 16, v4
	v_mul_f32_e32 v4, s0, v4
	s_delay_alu instid0(VALU_DEP_1) | instskip(NEXT) | instid1(VALU_DEP_1)
	v_and_b32_e32 v5, 0x7f800000, v4
	v_cmp_ne_u32_e64 s0, 0x7f800000, v5
	s_and_saveexec_b32 s8, s0
	s_delay_alu instid0(SALU_CYCLE_1)
	s_xor_b32 s0, exec_lo, s8
; %bb.6:                                ;   in Loop: Header=BB132_4 Depth=1
	v_bfe_u32 v5, v4, 16, 1
	s_delay_alu instid0(VALU_DEP_1)
	v_add3_u32 v6, v4, v5, 0x7fff
                                        ; implicit-def: $vgpr4
; %bb.7:                                ;   in Loop: Header=BB132_4 Depth=1
	s_and_not1_saveexec_b32 s8, s0
; %bb.8:                                ;   in Loop: Header=BB132_4 Depth=1
	v_and_b32_e32 v5, 0xffff, v4
	v_or_b32_e32 v6, 0x10000, v4
	s_delay_alu instid0(VALU_DEP_2) | instskip(NEXT) | instid1(VALU_DEP_1)
	v_cmp_eq_u32_e64 s0, 0, v5
	v_cndmask_b32_e64 v6, v6, v4, s0
; %bb.9:                                ;   in Loop: Header=BB132_4 Depth=1
	s_or_b32 exec_lo, exec_lo, s8
	s_mul_u64 s[8:9], s[18:19], s[2:3]
	s_delay_alu instid0(VALU_DEP_1) | instskip(SKIP_4) | instid1(VALU_DEP_1)
	v_and_b32_e32 v6, 0xffff0000, v6
	v_lshl_add_u64 v[4:5], s[8:9], 1, v[2:3]
	global_load_u16 v7, v[4:5], off
	s_wait_loadcnt 0x0
	v_lshlrev_b32_e32 v7, 16, v7
	v_add_f32_e32 v6, v6, v7
	s_delay_alu instid0(VALU_DEP_1) | instskip(NEXT) | instid1(VALU_DEP_1)
	v_and_b32_e32 v7, 0x7f800000, v6
	v_cmp_ne_u32_e64 s0, 0x7f800000, v7
                                        ; implicit-def: $vgpr7
	s_wait_xcnt 0x0
	s_and_saveexec_b32 s8, s0
	s_delay_alu instid0(SALU_CYCLE_1)
	s_xor_b32 s0, exec_lo, s8
; %bb.10:                               ;   in Loop: Header=BB132_4 Depth=1
	v_bfe_u32 v7, v6, 16, 1
	s_delay_alu instid0(VALU_DEP_1)
	v_add3_u32 v7, v6, v7, 0x7fff
                                        ; implicit-def: $vgpr6
; %bb.11:                               ;   in Loop: Header=BB132_4 Depth=1
	s_and_not1_saveexec_b32 s8, s0
	s_cbranch_execz .LBB132_2
; %bb.12:                               ;   in Loop: Header=BB132_4 Depth=1
	v_and_b32_e32 v7, 0xffff, v6
	v_or_b32_e32 v8, 0x10000, v6
	s_delay_alu instid0(VALU_DEP_2) | instskip(NEXT) | instid1(VALU_DEP_1)
	v_cmp_eq_u32_e64 s0, 0, v7
	v_cndmask_b32_e64 v7, v8, v6, s0
	s_branch .LBB132_2
.LBB132_13:
	s_endpgm
	.section	.rodata,"a",@progbits
	.p2align	6, 0x0
	.amdhsa_kernel _ZL26rocblas_haxpy_mod_8_kernelILi256EPKfPK16rocblas_bfloat16PS2_EviT0_lT1_llT2_lli
		.amdhsa_group_segment_fixed_size 0
		.amdhsa_private_segment_fixed_size 0
		.amdhsa_kernarg_size 76
		.amdhsa_user_sgpr_count 2
		.amdhsa_user_sgpr_dispatch_ptr 0
		.amdhsa_user_sgpr_queue_ptr 0
		.amdhsa_user_sgpr_kernarg_segment_ptr 1
		.amdhsa_user_sgpr_dispatch_id 0
		.amdhsa_user_sgpr_kernarg_preload_length 0
		.amdhsa_user_sgpr_kernarg_preload_offset 0
		.amdhsa_user_sgpr_private_segment_size 0
		.amdhsa_wavefront_size32 1
		.amdhsa_uses_dynamic_stack 0
		.amdhsa_enable_private_segment 0
		.amdhsa_system_sgpr_workgroup_id_x 1
		.amdhsa_system_sgpr_workgroup_id_y 0
		.amdhsa_system_sgpr_workgroup_id_z 1
		.amdhsa_system_sgpr_workgroup_info 0
		.amdhsa_system_vgpr_workitem_id 0
		.amdhsa_next_free_vgpr 9
		.amdhsa_next_free_sgpr 24
		.amdhsa_named_barrier_count 0
		.amdhsa_reserve_vcc 1
		.amdhsa_float_round_mode_32 0
		.amdhsa_float_round_mode_16_64 0
		.amdhsa_float_denorm_mode_32 3
		.amdhsa_float_denorm_mode_16_64 3
		.amdhsa_fp16_overflow 0
		.amdhsa_memory_ordered 1
		.amdhsa_forward_progress 1
		.amdhsa_inst_pref_size 5
		.amdhsa_round_robin_scheduling 0
		.amdhsa_exception_fp_ieee_invalid_op 0
		.amdhsa_exception_fp_denorm_src 0
		.amdhsa_exception_fp_ieee_div_zero 0
		.amdhsa_exception_fp_ieee_overflow 0
		.amdhsa_exception_fp_ieee_underflow 0
		.amdhsa_exception_fp_ieee_inexact 0
		.amdhsa_exception_int_div_zero 0
	.end_amdhsa_kernel
	.section	.text._ZL26rocblas_haxpy_mod_8_kernelILi256EPKfPK16rocblas_bfloat16PS2_EviT0_lT1_llT2_lli,"axG",@progbits,_ZL26rocblas_haxpy_mod_8_kernelILi256EPKfPK16rocblas_bfloat16PS2_EviT0_lT1_llT2_lli,comdat
.Lfunc_end132:
	.size	_ZL26rocblas_haxpy_mod_8_kernelILi256EPKfPK16rocblas_bfloat16PS2_EviT0_lT1_llT2_lli, .Lfunc_end132-_ZL26rocblas_haxpy_mod_8_kernelILi256EPKfPK16rocblas_bfloat16PS2_EviT0_lT1_llT2_lli
                                        ; -- End function
	.set _ZL26rocblas_haxpy_mod_8_kernelILi256EPKfPK16rocblas_bfloat16PS2_EviT0_lT1_llT2_lli.num_vgpr, 9
	.set _ZL26rocblas_haxpy_mod_8_kernelILi256EPKfPK16rocblas_bfloat16PS2_EviT0_lT1_llT2_lli.num_agpr, 0
	.set _ZL26rocblas_haxpy_mod_8_kernelILi256EPKfPK16rocblas_bfloat16PS2_EviT0_lT1_llT2_lli.numbered_sgpr, 24
	.set _ZL26rocblas_haxpy_mod_8_kernelILi256EPKfPK16rocblas_bfloat16PS2_EviT0_lT1_llT2_lli.num_named_barrier, 0
	.set _ZL26rocblas_haxpy_mod_8_kernelILi256EPKfPK16rocblas_bfloat16PS2_EviT0_lT1_llT2_lli.private_seg_size, 0
	.set _ZL26rocblas_haxpy_mod_8_kernelILi256EPKfPK16rocblas_bfloat16PS2_EviT0_lT1_llT2_lli.uses_vcc, 1
	.set _ZL26rocblas_haxpy_mod_8_kernelILi256EPKfPK16rocblas_bfloat16PS2_EviT0_lT1_llT2_lli.uses_flat_scratch, 0
	.set _ZL26rocblas_haxpy_mod_8_kernelILi256EPKfPK16rocblas_bfloat16PS2_EviT0_lT1_llT2_lli.has_dyn_sized_stack, 0
	.set _ZL26rocblas_haxpy_mod_8_kernelILi256EPKfPK16rocblas_bfloat16PS2_EviT0_lT1_llT2_lli.has_recursion, 0
	.set _ZL26rocblas_haxpy_mod_8_kernelILi256EPKfPK16rocblas_bfloat16PS2_EviT0_lT1_llT2_lli.has_indirect_call, 0
	.section	.AMDGPU.csdata,"",@progbits
; Kernel info:
; codeLenInByte = 600
; TotalNumSgprs: 26
; NumVgprs: 9
; ScratchSize: 0
; MemoryBound: 0
; FloatMode: 240
; IeeeMode: 1
; LDSByteSize: 0 bytes/workgroup (compile time only)
; SGPRBlocks: 0
; VGPRBlocks: 0
; NumSGPRsForWavesPerEU: 26
; NumVGPRsForWavesPerEU: 9
; NamedBarCnt: 0
; Occupancy: 16
; WaveLimiterHint : 0
; COMPUTE_PGM_RSRC2:SCRATCH_EN: 0
; COMPUTE_PGM_RSRC2:USER_SGPR: 2
; COMPUTE_PGM_RSRC2:TRAP_HANDLER: 0
; COMPUTE_PGM_RSRC2:TGID_X_EN: 1
; COMPUTE_PGM_RSRC2:TGID_Y_EN: 0
; COMPUTE_PGM_RSRC2:TGID_Z_EN: 1
; COMPUTE_PGM_RSRC2:TIDIG_COMP_CNT: 0
	.section	.text._ZL26rocblas_haxpy_mod_8_kernelILi256EfPK16rocblas_bfloat16PS0_EviT0_lT1_llT2_lli,"axG",@progbits,_ZL26rocblas_haxpy_mod_8_kernelILi256EfPK16rocblas_bfloat16PS0_EviT0_lT1_llT2_lli,comdat
	.globl	_ZL26rocblas_haxpy_mod_8_kernelILi256EfPK16rocblas_bfloat16PS0_EviT0_lT1_llT2_lli ; -- Begin function _ZL26rocblas_haxpy_mod_8_kernelILi256EfPK16rocblas_bfloat16PS0_EviT0_lT1_llT2_lli
	.p2align	8
	.type	_ZL26rocblas_haxpy_mod_8_kernelILi256EfPK16rocblas_bfloat16PS0_EviT0_lT1_llT2_lli,@function
_ZL26rocblas_haxpy_mod_8_kernelILi256EfPK16rocblas_bfloat16PS0_EviT0_lT1_llT2_lli: ; @_ZL26rocblas_haxpy_mod_8_kernelILi256EfPK16rocblas_bfloat16PS0_EviT0_lT1_llT2_lli
; %bb.0:
	s_load_b32 s18, s[0:1], 0x40
	s_bfe_u32 s2, ttmp6, 0x40014
	s_lshr_b32 s3, ttmp7, 16
	s_add_co_i32 s2, s2, 1
	s_bfe_u32 s4, ttmp6, 0x40008
	s_mul_i32 s2, s3, s2
	s_getreg_b32 s19, hwreg(HW_REG_IB_STS2, 6, 4)
	s_add_co_i32 s4, s4, s2
	s_cmp_eq_u32 s19, 0
	s_cselect_b32 s2, s3, s4
	s_mov_b32 s3, 0
	s_wait_kmcnt 0x0
	s_cmp_ge_u32 s2, s18
	s_cbranch_scc1 .LBB133_13
; %bb.1:
	s_clause 0x2
	s_load_b256 s[4:11], s[0:1], 0x10
	s_load_b128 s[12:15], s[0:1], 0x30
	s_load_b64 s[16:17], s[0:1], 0x0
	s_wait_xcnt 0x0
	s_bfe_u32 s0, ttmp6, 0x4000c
	s_and_b32 s1, ttmp6, 15
	s_add_co_i32 s0, s0, 1
	v_mov_b32_e32 v1, 0
	s_mul_i32 s0, ttmp9, s0
	s_delay_alu instid0(SALU_CYCLE_1) | instskip(SKIP_2) | instid1(SALU_CYCLE_1)
	s_add_co_i32 s1, s1, s0
	s_cmp_eq_u32 s19, 0
	s_cselect_b32 s0, ttmp9, s1
	v_lshl_or_b32 v0, s0, 8, v0
	s_delay_alu instid0(VALU_DEP_1)
	v_lshlrev_b64_e32 v[2:3], 1, v[0:1]
	s_wait_kmcnt 0x0
	s_lshl_b64 s[0:1], s[6:7], 1
	s_lshl_b64 s[6:7], s[12:13], 1
	s_cmp_neq_f32 s17, 0
	s_add_nc_u64 s[0:1], s[4:5], s[0:1]
	s_mov_b32 s4, s16
	s_add_nc_u64 s[6:7], s[10:11], s[6:7]
	s_cselect_b32 s12, -1, 0
	s_ashr_i32 s5, s16, 31
	s_delay_alu instid0(SALU_CYCLE_1)
	v_cmp_gt_i64_e32 vcc_lo, s[4:5], v[0:1]
	v_add_nc_u64_e32 v[0:1], s[0:1], v[2:3]
	v_add_nc_u64_e32 v[2:3], s[6:7], v[2:3]
	s_and_b32 s0, s12, vcc_lo
	s_branch .LBB133_4
.LBB133_2:                              ;   in Loop: Header=BB133_4 Depth=1
	s_or_b32 exec_lo, exec_lo, s4
	global_store_d16_hi_b16 v[4:5], v7, off
.LBB133_3:                              ;   in Loop: Header=BB133_4 Depth=1
	s_wait_xcnt 0x0
	s_or_b32 exec_lo, exec_lo, s1
	s_add_co_i32 s2, s2, 0x10000
	s_delay_alu instid0(SALU_CYCLE_1)
	s_cmp_lt_u32 s2, s18
	s_cbranch_scc0 .LBB133_13
.LBB133_4:                              ; =>This Inner Loop Header: Depth=1
	s_and_saveexec_b32 s1, s0
	s_cbranch_execz .LBB133_3
; %bb.5:                                ;   in Loop: Header=BB133_4 Depth=1
	s_mul_u64 s[4:5], s[8:9], s[2:3]
                                        ; implicit-def: $vgpr6
	s_delay_alu instid0(SALU_CYCLE_1)
	v_lshl_add_u64 v[4:5], s[4:5], 1, v[0:1]
	s_mov_b32 s4, exec_lo
	global_load_u16 v4, v[4:5], off
	s_wait_loadcnt 0x0
	s_wait_xcnt 0x0
	v_lshlrev_b32_e32 v4, 16, v4
	s_delay_alu instid0(VALU_DEP_1) | instskip(NEXT) | instid1(VALU_DEP_1)
	v_mul_f32_e32 v4, s17, v4
	v_and_b32_e32 v5, 0x7f800000, v4
	s_delay_alu instid0(VALU_DEP_1)
	v_cmpx_ne_u32_e32 0x7f800000, v5
	s_xor_b32 s4, exec_lo, s4
; %bb.6:                                ;   in Loop: Header=BB133_4 Depth=1
	v_bfe_u32 v5, v4, 16, 1
	s_delay_alu instid0(VALU_DEP_1)
	v_add3_u32 v6, v4, v5, 0x7fff
                                        ; implicit-def: $vgpr4
; %bb.7:                                ;   in Loop: Header=BB133_4 Depth=1
	s_and_not1_saveexec_b32 s4, s4
; %bb.8:                                ;   in Loop: Header=BB133_4 Depth=1
	v_and_b32_e32 v5, 0xffff, v4
	v_or_b32_e32 v6, 0x10000, v4
	s_delay_alu instid0(VALU_DEP_2) | instskip(NEXT) | instid1(VALU_DEP_2)
	v_cmp_eq_u32_e32 vcc_lo, 0, v5
	v_cndmask_b32_e32 v6, v6, v4, vcc_lo
; %bb.9:                                ;   in Loop: Header=BB133_4 Depth=1
	s_or_b32 exec_lo, exec_lo, s4
	s_mul_u64 s[4:5], s[14:15], s[2:3]
	s_delay_alu instid0(VALU_DEP_1) | instskip(SKIP_4) | instid1(VALU_DEP_1)
	v_and_b32_e32 v6, 0xffff0000, v6
	v_lshl_add_u64 v[4:5], s[4:5], 1, v[2:3]
	global_load_u16 v7, v[4:5], off
	s_wait_loadcnt 0x0
	v_lshlrev_b32_e32 v7, 16, v7
	v_add_f32_e32 v6, v6, v7
	s_delay_alu instid0(VALU_DEP_1) | instskip(NEXT) | instid1(VALU_DEP_1)
	v_and_b32_e32 v7, 0x7f800000, v6
	v_cmp_ne_u32_e32 vcc_lo, 0x7f800000, v7
                                        ; implicit-def: $vgpr7
	s_wait_xcnt 0x0
	s_and_saveexec_b32 s4, vcc_lo
	s_delay_alu instid0(SALU_CYCLE_1)
	s_xor_b32 s4, exec_lo, s4
; %bb.10:                               ;   in Loop: Header=BB133_4 Depth=1
	v_bfe_u32 v7, v6, 16, 1
	s_delay_alu instid0(VALU_DEP_1)
	v_add3_u32 v7, v6, v7, 0x7fff
                                        ; implicit-def: $vgpr6
; %bb.11:                               ;   in Loop: Header=BB133_4 Depth=1
	s_and_not1_saveexec_b32 s4, s4
	s_cbranch_execz .LBB133_2
; %bb.12:                               ;   in Loop: Header=BB133_4 Depth=1
	v_and_b32_e32 v7, 0xffff, v6
	v_or_b32_e32 v8, 0x10000, v6
	s_delay_alu instid0(VALU_DEP_2) | instskip(NEXT) | instid1(VALU_DEP_2)
	v_cmp_eq_u32_e32 vcc_lo, 0, v7
	v_cndmask_b32_e32 v7, v8, v6, vcc_lo
	s_branch .LBB133_2
.LBB133_13:
	s_endpgm
	.section	.rodata,"a",@progbits
	.p2align	6, 0x0
	.amdhsa_kernel _ZL26rocblas_haxpy_mod_8_kernelILi256EfPK16rocblas_bfloat16PS0_EviT0_lT1_llT2_lli
		.amdhsa_group_segment_fixed_size 0
		.amdhsa_private_segment_fixed_size 0
		.amdhsa_kernarg_size 68
		.amdhsa_user_sgpr_count 2
		.amdhsa_user_sgpr_dispatch_ptr 0
		.amdhsa_user_sgpr_queue_ptr 0
		.amdhsa_user_sgpr_kernarg_segment_ptr 1
		.amdhsa_user_sgpr_dispatch_id 0
		.amdhsa_user_sgpr_kernarg_preload_length 0
		.amdhsa_user_sgpr_kernarg_preload_offset 0
		.amdhsa_user_sgpr_private_segment_size 0
		.amdhsa_wavefront_size32 1
		.amdhsa_uses_dynamic_stack 0
		.amdhsa_enable_private_segment 0
		.amdhsa_system_sgpr_workgroup_id_x 1
		.amdhsa_system_sgpr_workgroup_id_y 0
		.amdhsa_system_sgpr_workgroup_id_z 1
		.amdhsa_system_sgpr_workgroup_info 0
		.amdhsa_system_vgpr_workitem_id 0
		.amdhsa_next_free_vgpr 9
		.amdhsa_next_free_sgpr 20
		.amdhsa_named_barrier_count 0
		.amdhsa_reserve_vcc 1
		.amdhsa_float_round_mode_32 0
		.amdhsa_float_round_mode_16_64 0
		.amdhsa_float_denorm_mode_32 3
		.amdhsa_float_denorm_mode_16_64 3
		.amdhsa_fp16_overflow 0
		.amdhsa_memory_ordered 1
		.amdhsa_forward_progress 1
		.amdhsa_inst_pref_size 5
		.amdhsa_round_robin_scheduling 0
		.amdhsa_exception_fp_ieee_invalid_op 0
		.amdhsa_exception_fp_denorm_src 0
		.amdhsa_exception_fp_ieee_div_zero 0
		.amdhsa_exception_fp_ieee_overflow 0
		.amdhsa_exception_fp_ieee_underflow 0
		.amdhsa_exception_fp_ieee_inexact 0
		.amdhsa_exception_int_div_zero 0
	.end_amdhsa_kernel
	.section	.text._ZL26rocblas_haxpy_mod_8_kernelILi256EfPK16rocblas_bfloat16PS0_EviT0_lT1_llT2_lli,"axG",@progbits,_ZL26rocblas_haxpy_mod_8_kernelILi256EfPK16rocblas_bfloat16PS0_EviT0_lT1_llT2_lli,comdat
.Lfunc_end133:
	.size	_ZL26rocblas_haxpy_mod_8_kernelILi256EfPK16rocblas_bfloat16PS0_EviT0_lT1_llT2_lli, .Lfunc_end133-_ZL26rocblas_haxpy_mod_8_kernelILi256EfPK16rocblas_bfloat16PS0_EviT0_lT1_llT2_lli
                                        ; -- End function
	.set _ZL26rocblas_haxpy_mod_8_kernelILi256EfPK16rocblas_bfloat16PS0_EviT0_lT1_llT2_lli.num_vgpr, 9
	.set _ZL26rocblas_haxpy_mod_8_kernelILi256EfPK16rocblas_bfloat16PS0_EviT0_lT1_llT2_lli.num_agpr, 0
	.set _ZL26rocblas_haxpy_mod_8_kernelILi256EfPK16rocblas_bfloat16PS0_EviT0_lT1_llT2_lli.numbered_sgpr, 20
	.set _ZL26rocblas_haxpy_mod_8_kernelILi256EfPK16rocblas_bfloat16PS0_EviT0_lT1_llT2_lli.num_named_barrier, 0
	.set _ZL26rocblas_haxpy_mod_8_kernelILi256EfPK16rocblas_bfloat16PS0_EviT0_lT1_llT2_lli.private_seg_size, 0
	.set _ZL26rocblas_haxpy_mod_8_kernelILi256EfPK16rocblas_bfloat16PS0_EviT0_lT1_llT2_lli.uses_vcc, 1
	.set _ZL26rocblas_haxpy_mod_8_kernelILi256EfPK16rocblas_bfloat16PS0_EviT0_lT1_llT2_lli.uses_flat_scratch, 0
	.set _ZL26rocblas_haxpy_mod_8_kernelILi256EfPK16rocblas_bfloat16PS0_EviT0_lT1_llT2_lli.has_dyn_sized_stack, 0
	.set _ZL26rocblas_haxpy_mod_8_kernelILi256EfPK16rocblas_bfloat16PS0_EviT0_lT1_llT2_lli.has_recursion, 0
	.set _ZL26rocblas_haxpy_mod_8_kernelILi256EfPK16rocblas_bfloat16PS0_EviT0_lT1_llT2_lli.has_indirect_call, 0
	.section	.AMDGPU.csdata,"",@progbits
; Kernel info:
; codeLenInByte = 556
; TotalNumSgprs: 22
; NumVgprs: 9
; ScratchSize: 0
; MemoryBound: 0
; FloatMode: 240
; IeeeMode: 1
; LDSByteSize: 0 bytes/workgroup (compile time only)
; SGPRBlocks: 0
; VGPRBlocks: 0
; NumSGPRsForWavesPerEU: 22
; NumVGPRsForWavesPerEU: 9
; NamedBarCnt: 0
; Occupancy: 16
; WaveLimiterHint : 0
; COMPUTE_PGM_RSRC2:SCRATCH_EN: 0
; COMPUTE_PGM_RSRC2:USER_SGPR: 2
; COMPUTE_PGM_RSRC2:TRAP_HANDLER: 0
; COMPUTE_PGM_RSRC2:TGID_X_EN: 1
; COMPUTE_PGM_RSRC2:TGID_Y_EN: 0
; COMPUTE_PGM_RSRC2:TGID_Z_EN: 1
; COMPUTE_PGM_RSRC2:TIDIG_COMP_CNT: 0
	.section	.text._ZL22rocblas_saxpy_2_kernelILi256EfPKfPK16rocblas_bfloat16PS2_EviT1_lT2_llT3_lli,"axG",@progbits,_ZL22rocblas_saxpy_2_kernelILi256EfPKfPK16rocblas_bfloat16PS2_EviT1_lT2_llT3_lli,comdat
	.globl	_ZL22rocblas_saxpy_2_kernelILi256EfPKfPK16rocblas_bfloat16PS2_EviT1_lT2_llT3_lli ; -- Begin function _ZL22rocblas_saxpy_2_kernelILi256EfPKfPK16rocblas_bfloat16PS2_EviT1_lT2_llT3_lli
	.p2align	8
	.type	_ZL22rocblas_saxpy_2_kernelILi256EfPKfPK16rocblas_bfloat16PS2_EviT1_lT2_llT3_lli,@function
_ZL22rocblas_saxpy_2_kernelILi256EfPKfPK16rocblas_bfloat16PS2_EviT1_lT2_llT3_lli: ; @_ZL22rocblas_saxpy_2_kernelILi256EfPKfPK16rocblas_bfloat16PS2_EviT1_lT2_llT3_lli
; %bb.0:
	s_load_b32 s16, s[0:1], 0x48
	s_bfe_u32 s2, ttmp6, 0x40014
	s_lshr_b32 s3, ttmp7, 16
	s_add_co_i32 s2, s2, 1
	s_bfe_u32 s4, ttmp6, 0x40008
	s_mul_i32 s2, s3, s2
	s_getreg_b32 s17, hwreg(HW_REG_IB_STS2, 6, 4)
	s_add_co_i32 s4, s4, s2
	s_cmp_eq_u32 s17, 0
	s_cselect_b32 s2, s3, s4
	s_mov_b32 s3, 0
	s_wait_kmcnt 0x0
	s_cmp_ge_u32 s2, s16
	s_cbranch_scc1 .LBB134_33
; %bb.1:
	s_clause 0x4
	s_load_b32 s24, s[0:1], 0x0
	s_load_b128 s[4:7], s[0:1], 0x20
	s_load_b128 s[8:11], s[0:1], 0x38
	s_load_b64 s[18:19], s[0:1], 0x18
	s_load_b64 s[20:21], s[0:1], 0x30
	s_bfe_u32 s22, ttmp6, 0x4000c
	s_load_b128 s[12:15], s[0:1], 0x8
	s_add_co_i32 s22, s22, 1
	s_wait_xcnt 0x0
	s_and_b32 s0, ttmp6, 15
	s_mul_i32 s1, ttmp9, s22
	v_dual_mov_b32 v1, 0 :: v_dual_lshlrev_b32 v0, 1, v0
	s_add_co_i32 s0, s0, s1
	s_cmp_eq_u32 s17, 0
	s_cselect_b32 s0, ttmp9, s0
	s_delay_alu instid0(VALU_DEP_1) | instid1(SALU_CYCLE_1)
	v_lshl_or_b32 v0, s0, 9, v0
	s_wait_kmcnt 0x0
	s_add_co_i32 s22, s24, -1
	s_lshl_b64 s[4:5], s[4:5], 1
	s_ashr_i32 s23, s22, 31
	s_lshl_b64 s[8:9], s[8:9], 1
	v_cmp_eq_u64_e64 s0, s[22:23], v[0:1]
	v_cmp_gt_i64_e32 vcc_lo, s[22:23], v[0:1]
	v_lshlrev_b64_e32 v[0:1], 1, v[0:1]
	s_bitcmp1_b32 s24, 0
	s_add_nc_u64 s[4:5], s[18:19], s[4:5]
	s_cselect_b32 s1, -1, 0
	s_add_nc_u64 s[8:9], s[20:21], s[8:9]
	s_and_b32 s1, s1, s0
	s_branch .LBB134_5
.LBB134_2:                              ;   in Loop: Header=BB134_5 Depth=1
	s_or_b32 exec_lo, exec_lo, s17
	global_store_d16_hi_b16 v[2:3], v5, off
.LBB134_3:                              ;   in Loop: Header=BB134_5 Depth=1
	s_wait_xcnt 0x0
	s_or_b32 exec_lo, exec_lo, s18
.LBB134_4:                              ;   in Loop: Header=BB134_5 Depth=1
	s_add_co_i32 s2, s2, 0x10000
	s_delay_alu instid0(SALU_CYCLE_1)
	s_cmp_lt_u32 s2, s16
	s_cbranch_scc0 .LBB134_33
.LBB134_5:                              ; =>This Inner Loop Header: Depth=1
	s_wait_xcnt 0x0
	s_mul_u64 s[18:19], s[14:15], s[2:3]
	s_delay_alu instid0(SALU_CYCLE_1) | instskip(NEXT) | instid1(SALU_CYCLE_1)
	s_lshl_b64 s[18:19], s[18:19], 2
	s_add_nc_u64 s[18:19], s[12:13], s[18:19]
	s_load_b32 s17, s[18:19], 0x0
	s_wait_kmcnt 0x0
	s_cmp_eq_f32 s17, 0
	s_cbranch_scc1 .LBB134_4
; %bb.6:                                ;   in Loop: Header=BB134_5 Depth=1
	s_wait_xcnt 0x0
	s_mul_u64 s[18:19], s[10:11], s[2:3]
	s_mul_u64 s[20:21], s[6:7], s[2:3]
	s_lshl_b64 s[18:19], s[18:19], 1
	s_lshl_b64 s[20:21], s[20:21], 1
	s_add_nc_u64 s[18:19], s[8:9], s[18:19]
	s_add_nc_u64 s[20:21], s[4:5], s[20:21]
	v_add_nc_u64_e32 v[2:3], s[18:19], v[0:1]
	v_add_nc_u64_e32 v[4:5], s[20:21], v[0:1]
	s_and_saveexec_b32 s18, vcc_lo
	s_cbranch_execz .LBB134_24
; %bb.7:                                ;   in Loop: Header=BB134_5 Depth=1
	global_load_u16 v7, v[4:5], off
	global_load_u16 v6, v[2:3], off
	s_wait_loadcnt 0x1
	v_lshlrev_b32_e32 v7, 16, v7
	s_delay_alu instid0(VALU_DEP_1) | instskip(NEXT) | instid1(VALU_DEP_1)
	v_mul_f32_e32 v7, s17, v7
	v_and_b32_e32 v8, 0x7f800000, v7
	s_delay_alu instid0(VALU_DEP_1) | instskip(SKIP_2) | instid1(SALU_CYCLE_1)
	v_cmp_ne_u32_e64 s0, 0x7f800000, v8
                                        ; implicit-def: $vgpr8
	s_wait_xcnt 0x0
	s_and_saveexec_b32 s19, s0
	s_xor_b32 s0, exec_lo, s19
; %bb.8:                                ;   in Loop: Header=BB134_5 Depth=1
	v_bfe_u32 v8, v7, 16, 1
	s_delay_alu instid0(VALU_DEP_1)
	v_add3_u32 v8, v7, v8, 0x7fff
                                        ; implicit-def: $vgpr7
; %bb.9:                                ;   in Loop: Header=BB134_5 Depth=1
	s_and_not1_saveexec_b32 s19, s0
; %bb.10:                               ;   in Loop: Header=BB134_5 Depth=1
	v_and_b32_e32 v8, 0xffff, v7
	v_or_b32_e32 v9, 0x10000, v7
	s_delay_alu instid0(VALU_DEP_2) | instskip(NEXT) | instid1(VALU_DEP_1)
	v_cmp_eq_u32_e64 s0, 0, v8
	v_cndmask_b32_e64 v8, v9, v7, s0
; %bb.11:                               ;   in Loop: Header=BB134_5 Depth=1
	s_or_b32 exec_lo, exec_lo, s19
	s_delay_alu instid0(VALU_DEP_1) | instskip(SKIP_2) | instid1(VALU_DEP_1)
	v_and_b32_e32 v7, 0xffff0000, v8
	s_wait_loadcnt 0x0
	v_lshlrev_b32_e32 v6, 16, v6
	v_add_f32_e32 v6, v6, v7
	s_delay_alu instid0(VALU_DEP_1) | instskip(NEXT) | instid1(VALU_DEP_1)
	v_and_b32_e32 v7, 0x7f800000, v6
	v_cmp_ne_u32_e64 s0, 0x7f800000, v7
                                        ; implicit-def: $vgpr7
	s_and_saveexec_b32 s19, s0
	s_delay_alu instid0(SALU_CYCLE_1)
	s_xor_b32 s0, exec_lo, s19
; %bb.12:                               ;   in Loop: Header=BB134_5 Depth=1
	v_bfe_u32 v7, v6, 16, 1
	s_delay_alu instid0(VALU_DEP_1)
	v_add3_u32 v7, v6, v7, 0x7fff
                                        ; implicit-def: $vgpr6
; %bb.13:                               ;   in Loop: Header=BB134_5 Depth=1
	s_and_not1_saveexec_b32 s19, s0
; %bb.14:                               ;   in Loop: Header=BB134_5 Depth=1
	v_and_b32_e32 v7, 0xffff, v6
	v_or_b32_e32 v8, 0x10000, v6
	s_delay_alu instid0(VALU_DEP_2) | instskip(NEXT) | instid1(VALU_DEP_1)
	v_cmp_eq_u32_e64 s0, 0, v7
	v_cndmask_b32_e64 v7, v8, v6, s0
; %bb.15:                               ;   in Loop: Header=BB134_5 Depth=1
	s_or_b32 exec_lo, exec_lo, s19
	global_load_u16 v8, v[4:5], off offset:2
	s_clause 0x1
	global_load_u16 v6, v[2:3], off offset:2
	global_store_d16_hi_b16 v[2:3], v7, off
                                        ; implicit-def: $vgpr7
	s_wait_loadcnt 0x1
	v_lshlrev_b32_e32 v8, 16, v8
	s_delay_alu instid0(VALU_DEP_1) | instskip(NEXT) | instid1(VALU_DEP_1)
	v_mul_f32_e32 v8, s17, v8
	v_and_b32_e32 v9, 0x7f800000, v8
	s_delay_alu instid0(VALU_DEP_1) | instskip(SKIP_2) | instid1(SALU_CYCLE_1)
	v_cmp_ne_u32_e64 s0, 0x7f800000, v9
	s_wait_xcnt 0x0
	s_and_saveexec_b32 s19, s0
	s_xor_b32 s0, exec_lo, s19
; %bb.16:                               ;   in Loop: Header=BB134_5 Depth=1
	v_bfe_u32 v7, v8, 16, 1
	s_delay_alu instid0(VALU_DEP_1)
	v_add3_u32 v7, v8, v7, 0x7fff
                                        ; implicit-def: $vgpr8
; %bb.17:                               ;   in Loop: Header=BB134_5 Depth=1
	s_and_not1_saveexec_b32 s19, s0
; %bb.18:                               ;   in Loop: Header=BB134_5 Depth=1
	v_and_b32_e32 v7, 0xffff, v8
	v_or_b32_e32 v9, 0x10000, v8
	s_delay_alu instid0(VALU_DEP_2) | instskip(NEXT) | instid1(VALU_DEP_1)
	v_cmp_eq_u32_e64 s0, 0, v7
	v_cndmask_b32_e64 v7, v9, v8, s0
; %bb.19:                               ;   in Loop: Header=BB134_5 Depth=1
	s_or_b32 exec_lo, exec_lo, s19
	s_delay_alu instid0(VALU_DEP_1) | instskip(SKIP_2) | instid1(VALU_DEP_1)
	v_and_b32_e32 v7, 0xffff0000, v7
	s_wait_loadcnt 0x0
	v_lshlrev_b32_e32 v6, 16, v6
	v_add_f32_e32 v6, v6, v7
	s_delay_alu instid0(VALU_DEP_1) | instskip(NEXT) | instid1(VALU_DEP_1)
	v_and_b32_e32 v7, 0x7f800000, v6
	v_cmp_ne_u32_e64 s0, 0x7f800000, v7
                                        ; implicit-def: $vgpr7
	s_and_saveexec_b32 s19, s0
	s_delay_alu instid0(SALU_CYCLE_1)
	s_xor_b32 s0, exec_lo, s19
; %bb.20:                               ;   in Loop: Header=BB134_5 Depth=1
	v_bfe_u32 v7, v6, 16, 1
	s_delay_alu instid0(VALU_DEP_1)
	v_add3_u32 v7, v6, v7, 0x7fff
                                        ; implicit-def: $vgpr6
; %bb.21:                               ;   in Loop: Header=BB134_5 Depth=1
	s_and_not1_saveexec_b32 s19, s0
; %bb.22:                               ;   in Loop: Header=BB134_5 Depth=1
	v_and_b32_e32 v7, 0xffff, v6
	v_or_b32_e32 v8, 0x10000, v6
	s_delay_alu instid0(VALU_DEP_2) | instskip(NEXT) | instid1(VALU_DEP_1)
	v_cmp_eq_u32_e64 s0, 0, v7
	v_cndmask_b32_e64 v7, v8, v6, s0
; %bb.23:                               ;   in Loop: Header=BB134_5 Depth=1
	s_or_b32 exec_lo, exec_lo, s19
	global_store_d16_hi_b16 v[2:3], v7, off offset:2
.LBB134_24:                             ;   in Loop: Header=BB134_5 Depth=1
	s_wait_xcnt 0x0
	s_or_b32 exec_lo, exec_lo, s18
	s_and_saveexec_b32 s18, s1
	s_cbranch_execz .LBB134_3
; %bb.25:                               ;   in Loop: Header=BB134_5 Depth=1
	global_load_u16 v7, v[4:5], off
	global_load_u16 v6, v[2:3], off
	s_wait_loadcnt 0x1
	s_wait_xcnt 0x1
	v_lshlrev_b32_e32 v4, 16, v7
	s_delay_alu instid0(VALU_DEP_1) | instskip(NEXT) | instid1(VALU_DEP_1)
	v_mul_f32_e32 v4, s17, v4
	v_and_b32_e32 v5, 0x7f800000, v4
	s_delay_alu instid0(VALU_DEP_1) | instskip(SKIP_2) | instid1(SALU_CYCLE_1)
	v_cmp_ne_u32_e64 s0, 0x7f800000, v5
                                        ; implicit-def: $vgpr5
	s_wait_xcnt 0x0
	s_and_saveexec_b32 s17, s0
	s_xor_b32 s0, exec_lo, s17
; %bb.26:                               ;   in Loop: Header=BB134_5 Depth=1
	v_bfe_u32 v5, v4, 16, 1
	s_delay_alu instid0(VALU_DEP_1)
	v_add3_u32 v5, v4, v5, 0x7fff
                                        ; implicit-def: $vgpr4
; %bb.27:                               ;   in Loop: Header=BB134_5 Depth=1
	s_and_not1_saveexec_b32 s17, s0
; %bb.28:                               ;   in Loop: Header=BB134_5 Depth=1
	v_and_b32_e32 v5, 0xffff, v4
	v_or_b32_e32 v7, 0x10000, v4
	s_delay_alu instid0(VALU_DEP_2) | instskip(NEXT) | instid1(VALU_DEP_1)
	v_cmp_eq_u32_e64 s0, 0, v5
	v_cndmask_b32_e64 v5, v7, v4, s0
; %bb.29:                               ;   in Loop: Header=BB134_5 Depth=1
	s_or_b32 exec_lo, exec_lo, s17
	s_delay_alu instid0(VALU_DEP_1) | instskip(SKIP_2) | instid1(VALU_DEP_1)
	v_and_b32_e32 v4, 0xffff0000, v5
	s_wait_loadcnt 0x0
	v_lshlrev_b32_e32 v5, 16, v6
	v_add_f32_e32 v4, v5, v4
	s_delay_alu instid0(VALU_DEP_1) | instskip(NEXT) | instid1(VALU_DEP_1)
	v_and_b32_e32 v5, 0x7f800000, v4
	v_cmp_ne_u32_e64 s0, 0x7f800000, v5
                                        ; implicit-def: $vgpr5
	s_and_saveexec_b32 s17, s0
	s_delay_alu instid0(SALU_CYCLE_1)
	s_xor_b32 s0, exec_lo, s17
; %bb.30:                               ;   in Loop: Header=BB134_5 Depth=1
	v_bfe_u32 v5, v4, 16, 1
	s_delay_alu instid0(VALU_DEP_1)
	v_add3_u32 v5, v4, v5, 0x7fff
                                        ; implicit-def: $vgpr4
; %bb.31:                               ;   in Loop: Header=BB134_5 Depth=1
	s_and_not1_saveexec_b32 s17, s0
	s_cbranch_execz .LBB134_2
; %bb.32:                               ;   in Loop: Header=BB134_5 Depth=1
	v_and_b32_e32 v5, 0xffff, v4
	v_or_b32_e32 v6, 0x10000, v4
	s_delay_alu instid0(VALU_DEP_2) | instskip(NEXT) | instid1(VALU_DEP_1)
	v_cmp_eq_u32_e64 s0, 0, v5
	v_cndmask_b32_e64 v5, v6, v4, s0
	s_branch .LBB134_2
.LBB134_33:
	s_endpgm
	.section	.rodata,"a",@progbits
	.p2align	6, 0x0
	.amdhsa_kernel _ZL22rocblas_saxpy_2_kernelILi256EfPKfPK16rocblas_bfloat16PS2_EviT1_lT2_llT3_lli
		.amdhsa_group_segment_fixed_size 0
		.amdhsa_private_segment_fixed_size 0
		.amdhsa_kernarg_size 76
		.amdhsa_user_sgpr_count 2
		.amdhsa_user_sgpr_dispatch_ptr 0
		.amdhsa_user_sgpr_queue_ptr 0
		.amdhsa_user_sgpr_kernarg_segment_ptr 1
		.amdhsa_user_sgpr_dispatch_id 0
		.amdhsa_user_sgpr_kernarg_preload_length 0
		.amdhsa_user_sgpr_kernarg_preload_offset 0
		.amdhsa_user_sgpr_private_segment_size 0
		.amdhsa_wavefront_size32 1
		.amdhsa_uses_dynamic_stack 0
		.amdhsa_enable_private_segment 0
		.amdhsa_system_sgpr_workgroup_id_x 1
		.amdhsa_system_sgpr_workgroup_id_y 0
		.amdhsa_system_sgpr_workgroup_id_z 1
		.amdhsa_system_sgpr_workgroup_info 0
		.amdhsa_system_vgpr_workitem_id 0
		.amdhsa_next_free_vgpr 10
		.amdhsa_next_free_sgpr 25
		.amdhsa_named_barrier_count 0
		.amdhsa_reserve_vcc 1
		.amdhsa_float_round_mode_32 0
		.amdhsa_float_round_mode_16_64 0
		.amdhsa_float_denorm_mode_32 3
		.amdhsa_float_denorm_mode_16_64 3
		.amdhsa_fp16_overflow 0
		.amdhsa_memory_ordered 1
		.amdhsa_forward_progress 1
		.amdhsa_inst_pref_size 10
		.amdhsa_round_robin_scheduling 0
		.amdhsa_exception_fp_ieee_invalid_op 0
		.amdhsa_exception_fp_denorm_src 0
		.amdhsa_exception_fp_ieee_div_zero 0
		.amdhsa_exception_fp_ieee_overflow 0
		.amdhsa_exception_fp_ieee_underflow 0
		.amdhsa_exception_fp_ieee_inexact 0
		.amdhsa_exception_int_div_zero 0
	.end_amdhsa_kernel
	.section	.text._ZL22rocblas_saxpy_2_kernelILi256EfPKfPK16rocblas_bfloat16PS2_EviT1_lT2_llT3_lli,"axG",@progbits,_ZL22rocblas_saxpy_2_kernelILi256EfPKfPK16rocblas_bfloat16PS2_EviT1_lT2_llT3_lli,comdat
.Lfunc_end134:
	.size	_ZL22rocblas_saxpy_2_kernelILi256EfPKfPK16rocblas_bfloat16PS2_EviT1_lT2_llT3_lli, .Lfunc_end134-_ZL22rocblas_saxpy_2_kernelILi256EfPKfPK16rocblas_bfloat16PS2_EviT1_lT2_llT3_lli
                                        ; -- End function
	.set _ZL22rocblas_saxpy_2_kernelILi256EfPKfPK16rocblas_bfloat16PS2_EviT1_lT2_llT3_lli.num_vgpr, 10
	.set _ZL22rocblas_saxpy_2_kernelILi256EfPKfPK16rocblas_bfloat16PS2_EviT1_lT2_llT3_lli.num_agpr, 0
	.set _ZL22rocblas_saxpy_2_kernelILi256EfPKfPK16rocblas_bfloat16PS2_EviT1_lT2_llT3_lli.numbered_sgpr, 25
	.set _ZL22rocblas_saxpy_2_kernelILi256EfPKfPK16rocblas_bfloat16PS2_EviT1_lT2_llT3_lli.num_named_barrier, 0
	.set _ZL22rocblas_saxpy_2_kernelILi256EfPKfPK16rocblas_bfloat16PS2_EviT1_lT2_llT3_lli.private_seg_size, 0
	.set _ZL22rocblas_saxpy_2_kernelILi256EfPKfPK16rocblas_bfloat16PS2_EviT1_lT2_llT3_lli.uses_vcc, 1
	.set _ZL22rocblas_saxpy_2_kernelILi256EfPKfPK16rocblas_bfloat16PS2_EviT1_lT2_llT3_lli.uses_flat_scratch, 0
	.set _ZL22rocblas_saxpy_2_kernelILi256EfPKfPK16rocblas_bfloat16PS2_EviT1_lT2_llT3_lli.has_dyn_sized_stack, 0
	.set _ZL22rocblas_saxpy_2_kernelILi256EfPKfPK16rocblas_bfloat16PS2_EviT1_lT2_llT3_lli.has_recursion, 0
	.set _ZL22rocblas_saxpy_2_kernelILi256EfPKfPK16rocblas_bfloat16PS2_EviT1_lT2_llT3_lli.has_indirect_call, 0
	.section	.AMDGPU.csdata,"",@progbits
; Kernel info:
; codeLenInByte = 1236
; TotalNumSgprs: 27
; NumVgprs: 10
; ScratchSize: 0
; MemoryBound: 0
; FloatMode: 240
; IeeeMode: 1
; LDSByteSize: 0 bytes/workgroup (compile time only)
; SGPRBlocks: 0
; VGPRBlocks: 0
; NumSGPRsForWavesPerEU: 27
; NumVGPRsForWavesPerEU: 10
; NamedBarCnt: 0
; Occupancy: 16
; WaveLimiterHint : 0
; COMPUTE_PGM_RSRC2:SCRATCH_EN: 0
; COMPUTE_PGM_RSRC2:USER_SGPR: 2
; COMPUTE_PGM_RSRC2:TRAP_HANDLER: 0
; COMPUTE_PGM_RSRC2:TGID_X_EN: 1
; COMPUTE_PGM_RSRC2:TGID_Y_EN: 0
; COMPUTE_PGM_RSRC2:TGID_Z_EN: 1
; COMPUTE_PGM_RSRC2:TIDIG_COMP_CNT: 0
	.section	.text._ZL22rocblas_saxpy_2_kernelILi256EffPK16rocblas_bfloat16PS0_EviT1_lT2_llT3_lli,"axG",@progbits,_ZL22rocblas_saxpy_2_kernelILi256EffPK16rocblas_bfloat16PS0_EviT1_lT2_llT3_lli,comdat
	.globl	_ZL22rocblas_saxpy_2_kernelILi256EffPK16rocblas_bfloat16PS0_EviT1_lT2_llT3_lli ; -- Begin function _ZL22rocblas_saxpy_2_kernelILi256EffPK16rocblas_bfloat16PS0_EviT1_lT2_llT3_lli
	.p2align	8
	.type	_ZL22rocblas_saxpy_2_kernelILi256EffPK16rocblas_bfloat16PS0_EviT1_lT2_llT3_lli,@function
_ZL22rocblas_saxpy_2_kernelILi256EffPK16rocblas_bfloat16PS0_EviT1_lT2_llT3_lli: ; @_ZL22rocblas_saxpy_2_kernelILi256EffPK16rocblas_bfloat16PS0_EviT1_lT2_llT3_lli
; %bb.0:
	s_load_b32 s14, s[0:1], 0x40
	s_bfe_u32 s2, ttmp6, 0x40014
	s_lshr_b32 s3, ttmp7, 16
	s_add_co_i32 s2, s2, 1
	s_bfe_u32 s4, ttmp6, 0x40008
	s_mul_i32 s2, s3, s2
	s_getreg_b32 s15, hwreg(HW_REG_IB_STS2, 6, 4)
	s_add_co_i32 s4, s4, s2
	s_cmp_eq_u32 s15, 0
	s_cselect_b32 s2, s3, s4
	s_mov_b32 s3, 0
	s_wait_kmcnt 0x0
	s_cmp_ge_u32 s2, s14
	s_cbranch_scc1 .LBB135_33
; %bb.1:
	s_clause 0x3
	s_load_b128 s[4:7], s[0:1], 0x18
	s_load_b128 s[8:11], s[0:1], 0x30
	s_load_b64 s[12:13], s[0:1], 0x0
	s_load_b64 s[16:17], s[0:1], 0x10
	s_bfe_u32 s18, ttmp6, 0x4000c
	s_and_b32 s20, ttmp6, 15
	s_add_co_i32 s18, s18, 1
	v_dual_mov_b32 v1, 0 :: v_dual_lshlrev_b32 v0, 1, v0
	s_mul_i32 s21, ttmp9, s18
	s_load_b64 s[18:19], s[0:1], 0x28
	s_add_co_i32 s20, s20, s21
	s_cmp_eq_u32 s15, 0
	s_wait_xcnt 0x0
	s_cselect_b32 s0, ttmp9, s20
	s_delay_alu instid0(SALU_CYCLE_1)
	v_lshl_or_b32 v0, s0, 9, v0
	s_wait_kmcnt 0x0
	s_lshl_b64 s[4:5], s[4:5], 1
	s_lshl_b64 s[8:9], s[8:9], 1
	s_cmp_neq_f32 s13, 0
	s_add_nc_u64 s[4:5], s[16:17], s[4:5]
	s_cselect_b32 s1, -1, 0
	s_add_co_i32 s20, s12, -1
	s_delay_alu instid0(SALU_CYCLE_1)
	s_ashr_i32 s21, s20, 31
	s_bitcmp1_b32 s12, 0
	v_cmp_eq_u64_e32 vcc_lo, s[20:21], v[0:1]
	v_cmp_gt_i64_e64 s0, s[20:21], v[0:1]
	v_lshlrev_b64_e32 v[0:1], 1, v[0:1]
	s_cselect_b32 s12, -1, 0
	s_add_nc_u64 s[8:9], s[18:19], s[8:9]
	s_and_b32 s12, s12, vcc_lo
	s_branch .LBB135_5
.LBB135_2:                              ;   in Loop: Header=BB135_5 Depth=1
	s_or_b32 exec_lo, exec_lo, s16
	global_store_d16_hi_b16 v[2:3], v5, off
.LBB135_3:                              ;   in Loop: Header=BB135_5 Depth=1
	s_wait_xcnt 0x0
	s_or_b32 exec_lo, exec_lo, s15
.LBB135_4:                              ;   in Loop: Header=BB135_5 Depth=1
	s_add_co_i32 s2, s2, 0x10000
	s_delay_alu instid0(SALU_CYCLE_1)
	s_cmp_lt_u32 s2, s14
	s_cbranch_scc0 .LBB135_33
.LBB135_5:                              ; =>This Inner Loop Header: Depth=1
	s_and_not1_b32 vcc_lo, exec_lo, s1
	s_cbranch_vccnz .LBB135_4
; %bb.6:                                ;   in Loop: Header=BB135_5 Depth=1
	s_mul_u64 s[16:17], s[10:11], s[2:3]
	s_mul_u64 s[18:19], s[6:7], s[2:3]
	s_lshl_b64 s[16:17], s[16:17], 1
	s_lshl_b64 s[18:19], s[18:19], 1
	s_add_nc_u64 s[16:17], s[8:9], s[16:17]
	s_add_nc_u64 s[18:19], s[4:5], s[18:19]
	v_add_nc_u64_e32 v[2:3], s[16:17], v[0:1]
	v_add_nc_u64_e32 v[4:5], s[18:19], v[0:1]
	s_and_saveexec_b32 s15, s0
	s_cbranch_execz .LBB135_24
; %bb.7:                                ;   in Loop: Header=BB135_5 Depth=1
	global_load_u16 v7, v[4:5], off
	global_load_u16 v6, v[2:3], off
	s_wait_loadcnt 0x1
	v_lshlrev_b32_e32 v7, 16, v7
	s_delay_alu instid0(VALU_DEP_1) | instskip(NEXT) | instid1(VALU_DEP_1)
	v_mul_f32_e32 v7, s13, v7
	v_and_b32_e32 v8, 0x7f800000, v7
	s_delay_alu instid0(VALU_DEP_1) | instskip(SKIP_2) | instid1(SALU_CYCLE_1)
	v_cmp_ne_u32_e32 vcc_lo, 0x7f800000, v8
                                        ; implicit-def: $vgpr8
	s_wait_xcnt 0x0
	s_and_saveexec_b32 s16, vcc_lo
	s_xor_b32 s16, exec_lo, s16
; %bb.8:                                ;   in Loop: Header=BB135_5 Depth=1
	v_bfe_u32 v8, v7, 16, 1
	s_delay_alu instid0(VALU_DEP_1)
	v_add3_u32 v8, v7, v8, 0x7fff
                                        ; implicit-def: $vgpr7
; %bb.9:                                ;   in Loop: Header=BB135_5 Depth=1
	s_and_not1_saveexec_b32 s16, s16
; %bb.10:                               ;   in Loop: Header=BB135_5 Depth=1
	v_and_b32_e32 v8, 0xffff, v7
	v_or_b32_e32 v9, 0x10000, v7
	s_delay_alu instid0(VALU_DEP_2) | instskip(NEXT) | instid1(VALU_DEP_2)
	v_cmp_eq_u32_e32 vcc_lo, 0, v8
	v_cndmask_b32_e32 v8, v9, v7, vcc_lo
; %bb.11:                               ;   in Loop: Header=BB135_5 Depth=1
	s_or_b32 exec_lo, exec_lo, s16
	s_delay_alu instid0(VALU_DEP_1) | instskip(SKIP_2) | instid1(VALU_DEP_1)
	v_and_b32_e32 v7, 0xffff0000, v8
	s_wait_loadcnt 0x0
	v_lshlrev_b32_e32 v6, 16, v6
	v_add_f32_e32 v6, v6, v7
	s_delay_alu instid0(VALU_DEP_1) | instskip(NEXT) | instid1(VALU_DEP_1)
	v_and_b32_e32 v7, 0x7f800000, v6
	v_cmp_ne_u32_e32 vcc_lo, 0x7f800000, v7
                                        ; implicit-def: $vgpr7
	s_and_saveexec_b32 s16, vcc_lo
	s_delay_alu instid0(SALU_CYCLE_1)
	s_xor_b32 s16, exec_lo, s16
; %bb.12:                               ;   in Loop: Header=BB135_5 Depth=1
	v_bfe_u32 v7, v6, 16, 1
	s_delay_alu instid0(VALU_DEP_1)
	v_add3_u32 v7, v6, v7, 0x7fff
                                        ; implicit-def: $vgpr6
; %bb.13:                               ;   in Loop: Header=BB135_5 Depth=1
	s_and_not1_saveexec_b32 s16, s16
; %bb.14:                               ;   in Loop: Header=BB135_5 Depth=1
	v_and_b32_e32 v7, 0xffff, v6
	v_or_b32_e32 v8, 0x10000, v6
	s_delay_alu instid0(VALU_DEP_2) | instskip(NEXT) | instid1(VALU_DEP_2)
	v_cmp_eq_u32_e32 vcc_lo, 0, v7
	v_cndmask_b32_e32 v7, v8, v6, vcc_lo
; %bb.15:                               ;   in Loop: Header=BB135_5 Depth=1
	s_or_b32 exec_lo, exec_lo, s16
	global_load_u16 v8, v[4:5], off offset:2
	global_load_u16 v6, v[2:3], off offset:2
	s_mov_b32 s16, exec_lo
	global_store_d16_hi_b16 v[2:3], v7, off
                                        ; implicit-def: $vgpr7
	s_wait_loadcnt 0x1
	v_lshlrev_b32_e32 v8, 16, v8
	s_delay_alu instid0(VALU_DEP_1) | instskip(NEXT) | instid1(VALU_DEP_1)
	v_mul_f32_e32 v8, s13, v8
	v_and_b32_e32 v9, 0x7f800000, v8
	s_wait_xcnt 0x0
	s_delay_alu instid0(VALU_DEP_1)
	v_cmpx_ne_u32_e32 0x7f800000, v9
	s_xor_b32 s16, exec_lo, s16
; %bb.16:                               ;   in Loop: Header=BB135_5 Depth=1
	v_bfe_u32 v7, v8, 16, 1
	s_delay_alu instid0(VALU_DEP_1)
	v_add3_u32 v7, v8, v7, 0x7fff
                                        ; implicit-def: $vgpr8
; %bb.17:                               ;   in Loop: Header=BB135_5 Depth=1
	s_and_not1_saveexec_b32 s16, s16
; %bb.18:                               ;   in Loop: Header=BB135_5 Depth=1
	v_and_b32_e32 v7, 0xffff, v8
	v_or_b32_e32 v9, 0x10000, v8
	s_delay_alu instid0(VALU_DEP_2) | instskip(NEXT) | instid1(VALU_DEP_2)
	v_cmp_eq_u32_e32 vcc_lo, 0, v7
	v_cndmask_b32_e32 v7, v9, v8, vcc_lo
; %bb.19:                               ;   in Loop: Header=BB135_5 Depth=1
	s_or_b32 exec_lo, exec_lo, s16
	s_delay_alu instid0(VALU_DEP_1) | instskip(SKIP_2) | instid1(VALU_DEP_1)
	v_and_b32_e32 v7, 0xffff0000, v7
	s_wait_loadcnt 0x0
	v_lshlrev_b32_e32 v6, 16, v6
	v_add_f32_e32 v6, v6, v7
	s_delay_alu instid0(VALU_DEP_1) | instskip(NEXT) | instid1(VALU_DEP_1)
	v_and_b32_e32 v7, 0x7f800000, v6
	v_cmp_ne_u32_e32 vcc_lo, 0x7f800000, v7
                                        ; implicit-def: $vgpr7
	s_and_saveexec_b32 s16, vcc_lo
	s_delay_alu instid0(SALU_CYCLE_1)
	s_xor_b32 s16, exec_lo, s16
; %bb.20:                               ;   in Loop: Header=BB135_5 Depth=1
	v_bfe_u32 v7, v6, 16, 1
	s_delay_alu instid0(VALU_DEP_1)
	v_add3_u32 v7, v6, v7, 0x7fff
                                        ; implicit-def: $vgpr6
; %bb.21:                               ;   in Loop: Header=BB135_5 Depth=1
	s_and_not1_saveexec_b32 s16, s16
; %bb.22:                               ;   in Loop: Header=BB135_5 Depth=1
	v_and_b32_e32 v7, 0xffff, v6
	v_or_b32_e32 v8, 0x10000, v6
	s_delay_alu instid0(VALU_DEP_2) | instskip(NEXT) | instid1(VALU_DEP_2)
	v_cmp_eq_u32_e32 vcc_lo, 0, v7
	v_cndmask_b32_e32 v7, v8, v6, vcc_lo
; %bb.23:                               ;   in Loop: Header=BB135_5 Depth=1
	s_or_b32 exec_lo, exec_lo, s16
	global_store_d16_hi_b16 v[2:3], v7, off offset:2
.LBB135_24:                             ;   in Loop: Header=BB135_5 Depth=1
	s_wait_xcnt 0x0
	s_or_b32 exec_lo, exec_lo, s15
	s_and_saveexec_b32 s15, s12
	s_cbranch_execz .LBB135_3
; %bb.25:                               ;   in Loop: Header=BB135_5 Depth=1
	global_load_u16 v7, v[4:5], off
	global_load_u16 v6, v[2:3], off
	s_wait_loadcnt 0x1
	s_wait_xcnt 0x1
	v_lshlrev_b32_e32 v4, 16, v7
	s_delay_alu instid0(VALU_DEP_1) | instskip(NEXT) | instid1(VALU_DEP_1)
	v_mul_f32_e32 v4, s13, v4
	v_and_b32_e32 v5, 0x7f800000, v4
	s_delay_alu instid0(VALU_DEP_1) | instskip(SKIP_2) | instid1(SALU_CYCLE_1)
	v_cmp_ne_u32_e32 vcc_lo, 0x7f800000, v5
                                        ; implicit-def: $vgpr5
	s_wait_xcnt 0x0
	s_and_saveexec_b32 s16, vcc_lo
	s_xor_b32 s16, exec_lo, s16
; %bb.26:                               ;   in Loop: Header=BB135_5 Depth=1
	v_bfe_u32 v5, v4, 16, 1
	s_delay_alu instid0(VALU_DEP_1)
	v_add3_u32 v5, v4, v5, 0x7fff
                                        ; implicit-def: $vgpr4
; %bb.27:                               ;   in Loop: Header=BB135_5 Depth=1
	s_and_not1_saveexec_b32 s16, s16
; %bb.28:                               ;   in Loop: Header=BB135_5 Depth=1
	v_and_b32_e32 v5, 0xffff, v4
	v_or_b32_e32 v7, 0x10000, v4
	s_delay_alu instid0(VALU_DEP_2) | instskip(NEXT) | instid1(VALU_DEP_2)
	v_cmp_eq_u32_e32 vcc_lo, 0, v5
	v_cndmask_b32_e32 v5, v7, v4, vcc_lo
; %bb.29:                               ;   in Loop: Header=BB135_5 Depth=1
	s_or_b32 exec_lo, exec_lo, s16
	s_delay_alu instid0(VALU_DEP_1) | instskip(SKIP_2) | instid1(VALU_DEP_1)
	v_and_b32_e32 v4, 0xffff0000, v5
	s_wait_loadcnt 0x0
	v_lshlrev_b32_e32 v5, 16, v6
	v_add_f32_e32 v4, v5, v4
	s_delay_alu instid0(VALU_DEP_1) | instskip(NEXT) | instid1(VALU_DEP_1)
	v_and_b32_e32 v5, 0x7f800000, v4
	v_cmp_ne_u32_e32 vcc_lo, 0x7f800000, v5
                                        ; implicit-def: $vgpr5
	s_and_saveexec_b32 s16, vcc_lo
	s_delay_alu instid0(SALU_CYCLE_1)
	s_xor_b32 s16, exec_lo, s16
; %bb.30:                               ;   in Loop: Header=BB135_5 Depth=1
	v_bfe_u32 v5, v4, 16, 1
	s_delay_alu instid0(VALU_DEP_1)
	v_add3_u32 v5, v4, v5, 0x7fff
                                        ; implicit-def: $vgpr4
; %bb.31:                               ;   in Loop: Header=BB135_5 Depth=1
	s_and_not1_saveexec_b32 s16, s16
	s_cbranch_execz .LBB135_2
; %bb.32:                               ;   in Loop: Header=BB135_5 Depth=1
	v_and_b32_e32 v5, 0xffff, v4
	v_or_b32_e32 v6, 0x10000, v4
	s_delay_alu instid0(VALU_DEP_2) | instskip(NEXT) | instid1(VALU_DEP_2)
	v_cmp_eq_u32_e32 vcc_lo, 0, v5
	v_cndmask_b32_e32 v5, v6, v4, vcc_lo
	s_branch .LBB135_2
.LBB135_33:
	s_endpgm
	.section	.rodata,"a",@progbits
	.p2align	6, 0x0
	.amdhsa_kernel _ZL22rocblas_saxpy_2_kernelILi256EffPK16rocblas_bfloat16PS0_EviT1_lT2_llT3_lli
		.amdhsa_group_segment_fixed_size 0
		.amdhsa_private_segment_fixed_size 0
		.amdhsa_kernarg_size 68
		.amdhsa_user_sgpr_count 2
		.amdhsa_user_sgpr_dispatch_ptr 0
		.amdhsa_user_sgpr_queue_ptr 0
		.amdhsa_user_sgpr_kernarg_segment_ptr 1
		.amdhsa_user_sgpr_dispatch_id 0
		.amdhsa_user_sgpr_kernarg_preload_length 0
		.amdhsa_user_sgpr_kernarg_preload_offset 0
		.amdhsa_user_sgpr_private_segment_size 0
		.amdhsa_wavefront_size32 1
		.amdhsa_uses_dynamic_stack 0
		.amdhsa_enable_private_segment 0
		.amdhsa_system_sgpr_workgroup_id_x 1
		.amdhsa_system_sgpr_workgroup_id_y 0
		.amdhsa_system_sgpr_workgroup_id_z 1
		.amdhsa_system_sgpr_workgroup_info 0
		.amdhsa_system_vgpr_workitem_id 0
		.amdhsa_next_free_vgpr 10
		.amdhsa_next_free_sgpr 22
		.amdhsa_named_barrier_count 0
		.amdhsa_reserve_vcc 1
		.amdhsa_float_round_mode_32 0
		.amdhsa_float_round_mode_16_64 0
		.amdhsa_float_denorm_mode_32 3
		.amdhsa_float_denorm_mode_16_64 3
		.amdhsa_fp16_overflow 0
		.amdhsa_memory_ordered 1
		.amdhsa_forward_progress 1
		.amdhsa_inst_pref_size 9
		.amdhsa_round_robin_scheduling 0
		.amdhsa_exception_fp_ieee_invalid_op 0
		.amdhsa_exception_fp_denorm_src 0
		.amdhsa_exception_fp_ieee_div_zero 0
		.amdhsa_exception_fp_ieee_overflow 0
		.amdhsa_exception_fp_ieee_underflow 0
		.amdhsa_exception_fp_ieee_inexact 0
		.amdhsa_exception_int_div_zero 0
	.end_amdhsa_kernel
	.section	.text._ZL22rocblas_saxpy_2_kernelILi256EffPK16rocblas_bfloat16PS0_EviT1_lT2_llT3_lli,"axG",@progbits,_ZL22rocblas_saxpy_2_kernelILi256EffPK16rocblas_bfloat16PS0_EviT1_lT2_llT3_lli,comdat
.Lfunc_end135:
	.size	_ZL22rocblas_saxpy_2_kernelILi256EffPK16rocblas_bfloat16PS0_EviT1_lT2_llT3_lli, .Lfunc_end135-_ZL22rocblas_saxpy_2_kernelILi256EffPK16rocblas_bfloat16PS0_EviT1_lT2_llT3_lli
                                        ; -- End function
	.set _ZL22rocblas_saxpy_2_kernelILi256EffPK16rocblas_bfloat16PS0_EviT1_lT2_llT3_lli.num_vgpr, 10
	.set _ZL22rocblas_saxpy_2_kernelILi256EffPK16rocblas_bfloat16PS0_EviT1_lT2_llT3_lli.num_agpr, 0
	.set _ZL22rocblas_saxpy_2_kernelILi256EffPK16rocblas_bfloat16PS0_EviT1_lT2_llT3_lli.numbered_sgpr, 22
	.set _ZL22rocblas_saxpy_2_kernelILi256EffPK16rocblas_bfloat16PS0_EviT1_lT2_llT3_lli.num_named_barrier, 0
	.set _ZL22rocblas_saxpy_2_kernelILi256EffPK16rocblas_bfloat16PS0_EviT1_lT2_llT3_lli.private_seg_size, 0
	.set _ZL22rocblas_saxpy_2_kernelILi256EffPK16rocblas_bfloat16PS0_EviT1_lT2_llT3_lli.uses_vcc, 1
	.set _ZL22rocblas_saxpy_2_kernelILi256EffPK16rocblas_bfloat16PS0_EviT1_lT2_llT3_lli.uses_flat_scratch, 0
	.set _ZL22rocblas_saxpy_2_kernelILi256EffPK16rocblas_bfloat16PS0_EviT1_lT2_llT3_lli.has_dyn_sized_stack, 0
	.set _ZL22rocblas_saxpy_2_kernelILi256EffPK16rocblas_bfloat16PS0_EviT1_lT2_llT3_lli.has_recursion, 0
	.set _ZL22rocblas_saxpy_2_kernelILi256EffPK16rocblas_bfloat16PS0_EviT1_lT2_llT3_lli.has_indirect_call, 0
	.section	.AMDGPU.csdata,"",@progbits
; Kernel info:
; codeLenInByte = 1128
; TotalNumSgprs: 24
; NumVgprs: 10
; ScratchSize: 0
; MemoryBound: 0
; FloatMode: 240
; IeeeMode: 1
; LDSByteSize: 0 bytes/workgroup (compile time only)
; SGPRBlocks: 0
; VGPRBlocks: 0
; NumSGPRsForWavesPerEU: 24
; NumVGPRsForWavesPerEU: 10
; NamedBarCnt: 0
; Occupancy: 16
; WaveLimiterHint : 0
; COMPUTE_PGM_RSRC2:SCRATCH_EN: 0
; COMPUTE_PGM_RSRC2:USER_SGPR: 2
; COMPUTE_PGM_RSRC2:TRAP_HANDLER: 0
; COMPUTE_PGM_RSRC2:TGID_X_EN: 1
; COMPUTE_PGM_RSRC2:TGID_Y_EN: 0
; COMPUTE_PGM_RSRC2:TGID_Z_EN: 1
; COMPUTE_PGM_RSRC2:TIDIG_COMP_CNT: 0
	.section	.text._ZL27rocblas_axpy_kernel_batchedIiLi128ELi8EfPKfPK16rocblas_bfloat16PS2_EviT3_lT4_lT_lT5_lS8_li,"axG",@progbits,_ZL27rocblas_axpy_kernel_batchedIiLi128ELi8EfPKfPK16rocblas_bfloat16PS2_EviT3_lT4_lT_lT5_lS8_li,comdat
	.globl	_ZL27rocblas_axpy_kernel_batchedIiLi128ELi8EfPKfPK16rocblas_bfloat16PS2_EviT3_lT4_lT_lT5_lS8_li ; -- Begin function _ZL27rocblas_axpy_kernel_batchedIiLi128ELi8EfPKfPK16rocblas_bfloat16PS2_EviT3_lT4_lT_lT5_lS8_li
	.p2align	8
	.type	_ZL27rocblas_axpy_kernel_batchedIiLi128ELi8EfPKfPK16rocblas_bfloat16PS2_EviT3_lT4_lT_lT5_lS8_li,@function
_ZL27rocblas_axpy_kernel_batchedIiLi128ELi8EfPKfPK16rocblas_bfloat16PS2_EviT3_lT4_lT_lT5_lS8_li: ; @_ZL27rocblas_axpy_kernel_batchedIiLi128ELi8EfPKfPK16rocblas_bfloat16PS2_EviT3_lT4_lT_lT5_lS8_li
; %bb.0:
	s_load_b32 s4, s[0:1], 0x0
	s_bfe_u32 s2, ttmp6, 0x4000c
	s_and_b32 s3, ttmp6, 15
	s_add_co_i32 s5, s2, 1
	s_getreg_b32 s2, hwreg(HW_REG_IB_STS2, 6, 4)
	s_mul_i32 s5, ttmp9, s5
	v_and_b32_e32 v1, 0x3ff, v0
	s_add_co_i32 s3, s3, s5
	v_mov_b32_e32 v3, 0
	s_wait_kmcnt 0x0
	s_ashr_i32 s5, s4, 31
	s_cmp_eq_u32 s2, 0
	s_cselect_b32 s3, ttmp9, s3
	s_delay_alu instid0(SALU_CYCLE_1) | instskip(SKIP_1) | instid1(VALU_DEP_1)
	v_lshl_add_u32 v2, s3, 7, v1
	s_mov_b32 s3, exec_lo
	v_cmpx_gt_i64_e64 s[4:5], v[2:3]
	s_cbranch_execz .LBB136_47
; %bb.1:
	s_load_b32 s16, s[0:1], 0x58
	s_bfe_u32 s3, ttmp6, 0x40014
	v_lshrrev_b32_e32 v0, 8, v0
	s_lshr_b32 s4, ttmp7, 16
	s_add_co_i32 s3, s3, 1
	s_bfe_u32 s5, ttmp6, 0x40008
	s_mul_i32 s3, s4, s3
	v_and_b32_e32 v0, 0xffc, v0
	s_add_co_i32 s5, s5, s3
	s_cmp_eq_u32 s2, 0
	s_cselect_b32 s2, s4, s5
	s_delay_alu instid0(VALU_DEP_1) | instid1(SALU_CYCLE_1)
	v_lshl_add_u32 v0, s2, 5, v0
	s_wait_kmcnt 0x0
	s_delay_alu instid0(VALU_DEP_1)
	v_cmp_gt_u32_e32 vcc_lo, s16, v0
	s_and_b32 exec_lo, exec_lo, vcc_lo
	s_cbranch_execz .LBB136_47
; %bb.2:
	s_clause 0x4
	s_load_b32 s4, s[0:1], 0x28
	s_load_b96 s[20:22], s[0:1], 0x40
	s_load_b128 s[12:15], s[0:1], 0x30
	s_load_b64 s[2:3], s[0:1], 0x50
	s_load_b32 s17, s[0:1], 0x68
	v_mov_b32_e32 v1, 0
	s_wait_kmcnt 0x0
	s_ashr_i32 s5, s4, 31
	s_ashr_i32 s7, s22, 31
	s_mov_b32 s6, s22
	v_mul_u64_e32 v[4:5], s[4:5], v[2:3]
	v_mul_u64_e32 v[6:7], s[6:7], v[2:3]
	s_load_b256 s[4:11], s[0:1], 0x8
	s_wait_kmcnt 0x0
	s_lshl_b64 s[0:1], s[10:11], 1
	s_lshl_b64 s[10:11], s[20:21], 1
	s_add_nc_u64 s[0:1], s[8:9], s[0:1]
	s_add_nc_u64 s[8:9], s[14:15], s[10:11]
	s_delay_alu instid0(VALU_DEP_2) | instskip(NEXT) | instid1(VALU_DEP_2)
	v_lshl_add_u64 v[2:3], v[4:5], 1, s[0:1]
	v_lshl_add_u64 v[4:5], v[6:7], 1, s[8:9]
	s_lshl_b32 s0, s17, 5
	s_mov_b32 s1, 0
	s_branch .LBB136_5
.LBB136_3:                              ;   in Loop: Header=BB136_5 Depth=1
	s_or_b32 exec_lo, exec_lo, s9
	global_store_d16_hi_b16 v[6:7], v9, off
.LBB136_4:                              ;   in Loop: Header=BB136_5 Depth=1
	s_wait_xcnt 0x0
	s_or_b32 exec_lo, exec_lo, s8
	v_add_nc_u32_e32 v0, s0, v0
	s_delay_alu instid0(VALU_DEP_1) | instskip(SKIP_1) | instid1(SALU_CYCLE_1)
	v_cmp_le_u32_e32 vcc_lo, s16, v0
	s_or_b32 s1, vcc_lo, s1
	s_and_not1_b32 exec_lo, exec_lo, s1
	s_cbranch_execz .LBB136_47
.LBB136_5:                              ; =>This Inner Loop Header: Depth=1
	v_mul_u64_e32 v[6:7], s[6:7], v[0:1]
	s_mov_b32 s8, exec_lo
	s_delay_alu instid0(VALU_DEP_1)
	v_lshl_add_u64 v[6:7], v[6:7], 2, s[4:5]
	global_load_b32 v9, v[6:7], off
	s_wait_loadcnt 0x0
	s_wait_xcnt 0x0
	v_cmpx_neq_f32_e32 0, v9
	s_cbranch_execz .LBB136_15
; %bb.6:                                ;   in Loop: Header=BB136_5 Depth=1
	v_mul_u64_e32 v[6:7], s[12:13], v[0:1]
	v_mul_u64_e32 v[10:11], s[2:3], v[0:1]
	s_delay_alu instid0(VALU_DEP_2)
	v_lshl_add_u64 v[6:7], v[6:7], 1, v[2:3]
	global_load_u16 v12, v[6:7], off
	s_wait_xcnt 0x0
	v_lshl_add_u64 v[6:7], v[10:11], 1, v[4:5]
	global_load_u16 v8, v[6:7], off
	s_wait_loadcnt 0x1
	v_lshlrev_b32_e32 v10, 16, v12
	s_delay_alu instid0(VALU_DEP_1) | instskip(NEXT) | instid1(VALU_DEP_1)
	v_mul_f32_e32 v9, v9, v10
	v_and_b32_e32 v10, 0x7f800000, v9
	s_delay_alu instid0(VALU_DEP_1) | instskip(SKIP_2) | instid1(SALU_CYCLE_1)
	v_cmp_ne_u32_e32 vcc_lo, 0x7f800000, v10
                                        ; implicit-def: $vgpr10
	s_wait_xcnt 0x0
	s_and_saveexec_b32 s9, vcc_lo
	s_xor_b32 s9, exec_lo, s9
; %bb.7:                                ;   in Loop: Header=BB136_5 Depth=1
	v_bfe_u32 v10, v9, 16, 1
	s_delay_alu instid0(VALU_DEP_1)
	v_add3_u32 v10, v9, v10, 0x7fff
                                        ; implicit-def: $vgpr9
; %bb.8:                                ;   in Loop: Header=BB136_5 Depth=1
	s_and_not1_saveexec_b32 s9, s9
; %bb.9:                                ;   in Loop: Header=BB136_5 Depth=1
	v_and_b32_e32 v10, 0xffff, v9
	v_or_b32_e32 v11, 0x10000, v9
	s_delay_alu instid0(VALU_DEP_2) | instskip(NEXT) | instid1(VALU_DEP_2)
	v_cmp_eq_u32_e32 vcc_lo, 0, v10
	v_cndmask_b32_e32 v10, v11, v9, vcc_lo
; %bb.10:                               ;   in Loop: Header=BB136_5 Depth=1
	s_or_b32 exec_lo, exec_lo, s9
	s_delay_alu instid0(VALU_DEP_1) | instskip(SKIP_2) | instid1(VALU_DEP_1)
	v_and_b32_e32 v9, 0xffff0000, v10
	s_wait_loadcnt 0x0
	v_lshlrev_b32_e32 v8, 16, v8
	v_add_f32_e32 v8, v8, v9
	s_delay_alu instid0(VALU_DEP_1) | instskip(NEXT) | instid1(VALU_DEP_1)
	v_and_b32_e32 v9, 0x7f800000, v8
	v_cmp_ne_u32_e32 vcc_lo, 0x7f800000, v9
                                        ; implicit-def: $vgpr9
	s_and_saveexec_b32 s9, vcc_lo
	s_delay_alu instid0(SALU_CYCLE_1)
	s_xor_b32 s9, exec_lo, s9
; %bb.11:                               ;   in Loop: Header=BB136_5 Depth=1
	v_bfe_u32 v9, v8, 16, 1
	s_delay_alu instid0(VALU_DEP_1)
	v_add3_u32 v9, v8, v9, 0x7fff
                                        ; implicit-def: $vgpr8
; %bb.12:                               ;   in Loop: Header=BB136_5 Depth=1
	s_and_not1_saveexec_b32 s9, s9
; %bb.13:                               ;   in Loop: Header=BB136_5 Depth=1
	v_and_b32_e32 v9, 0xffff, v8
	v_or_b32_e32 v10, 0x10000, v8
	s_delay_alu instid0(VALU_DEP_2) | instskip(NEXT) | instid1(VALU_DEP_2)
	v_cmp_eq_u32_e32 vcc_lo, 0, v9
	v_cndmask_b32_e32 v9, v10, v8, vcc_lo
; %bb.14:                               ;   in Loop: Header=BB136_5 Depth=1
	s_or_b32 exec_lo, exec_lo, s9
	global_store_d16_hi_b16 v[6:7], v9, off
.LBB136_15:                             ;   in Loop: Header=BB136_5 Depth=1
	s_wait_xcnt 0x0
	s_or_b32 exec_lo, exec_lo, s8
	v_add_nc_u32_e32 v6, 1, v0
	s_mov_b32 s8, exec_lo
	s_delay_alu instid0(VALU_DEP_1)
	v_cmpx_gt_u32_e64 s16, v6
	s_cbranch_execz .LBB136_26
; %bb.16:                               ;   in Loop: Header=BB136_5 Depth=1
	v_mov_b32_e32 v7, v1
	s_delay_alu instid0(VALU_DEP_1) | instskip(NEXT) | instid1(VALU_DEP_1)
	v_mul_u64_e32 v[8:9], s[6:7], v[6:7]
	v_lshl_add_u64 v[8:9], v[8:9], 2, s[4:5]
	global_load_b32 v9, v[8:9], off
	s_wait_loadcnt 0x0
	v_cmp_neq_f32_e32 vcc_lo, 0, v9
	s_wait_xcnt 0x0
	s_and_b32 exec_lo, exec_lo, vcc_lo
	s_cbranch_execz .LBB136_26
; %bb.17:                               ;   in Loop: Header=BB136_5 Depth=1
	v_mul_u64_e32 v[10:11], s[12:13], v[6:7]
	v_mul_u64_e32 v[6:7], s[2:3], v[6:7]
	s_delay_alu instid0(VALU_DEP_2) | instskip(NEXT) | instid1(VALU_DEP_2)
	v_lshl_add_u64 v[10:11], v[10:11], 1, v[2:3]
	v_lshl_add_u64 v[6:7], v[6:7], 1, v[4:5]
	global_load_u16 v10, v[10:11], off
	global_load_u16 v8, v[6:7], off
	s_wait_loadcnt 0x1
	s_wait_xcnt 0x1
	v_lshlrev_b32_e32 v10, 16, v10
	s_delay_alu instid0(VALU_DEP_1) | instskip(NEXT) | instid1(VALU_DEP_1)
	v_mul_f32_e32 v9, v9, v10
	v_and_b32_e32 v10, 0x7f800000, v9
	s_delay_alu instid0(VALU_DEP_1) | instskip(SKIP_2) | instid1(SALU_CYCLE_1)
	v_cmp_ne_u32_e32 vcc_lo, 0x7f800000, v10
                                        ; implicit-def: $vgpr10
	s_wait_xcnt 0x0
	s_and_saveexec_b32 s9, vcc_lo
	s_xor_b32 s9, exec_lo, s9
; %bb.18:                               ;   in Loop: Header=BB136_5 Depth=1
	v_bfe_u32 v10, v9, 16, 1
	s_delay_alu instid0(VALU_DEP_1)
	v_add3_u32 v10, v9, v10, 0x7fff
                                        ; implicit-def: $vgpr9
; %bb.19:                               ;   in Loop: Header=BB136_5 Depth=1
	s_and_not1_saveexec_b32 s9, s9
; %bb.20:                               ;   in Loop: Header=BB136_5 Depth=1
	v_and_b32_e32 v10, 0xffff, v9
	v_or_b32_e32 v11, 0x10000, v9
	s_delay_alu instid0(VALU_DEP_2) | instskip(NEXT) | instid1(VALU_DEP_2)
	v_cmp_eq_u32_e32 vcc_lo, 0, v10
	v_cndmask_b32_e32 v10, v11, v9, vcc_lo
; %bb.21:                               ;   in Loop: Header=BB136_5 Depth=1
	s_or_b32 exec_lo, exec_lo, s9
	s_delay_alu instid0(VALU_DEP_1) | instskip(SKIP_2) | instid1(VALU_DEP_1)
	v_and_b32_e32 v9, 0xffff0000, v10
	s_wait_loadcnt 0x0
	v_lshlrev_b32_e32 v8, 16, v8
	v_add_f32_e32 v8, v8, v9
	s_delay_alu instid0(VALU_DEP_1) | instskip(NEXT) | instid1(VALU_DEP_1)
	v_and_b32_e32 v9, 0x7f800000, v8
	v_cmp_ne_u32_e32 vcc_lo, 0x7f800000, v9
                                        ; implicit-def: $vgpr9
	s_and_saveexec_b32 s9, vcc_lo
	s_delay_alu instid0(SALU_CYCLE_1)
	s_xor_b32 s9, exec_lo, s9
; %bb.22:                               ;   in Loop: Header=BB136_5 Depth=1
	v_bfe_u32 v9, v8, 16, 1
	s_delay_alu instid0(VALU_DEP_1)
	v_add3_u32 v9, v8, v9, 0x7fff
                                        ; implicit-def: $vgpr8
; %bb.23:                               ;   in Loop: Header=BB136_5 Depth=1
	s_and_not1_saveexec_b32 s9, s9
; %bb.24:                               ;   in Loop: Header=BB136_5 Depth=1
	v_and_b32_e32 v9, 0xffff, v8
	v_or_b32_e32 v10, 0x10000, v8
	s_delay_alu instid0(VALU_DEP_2) | instskip(NEXT) | instid1(VALU_DEP_2)
	v_cmp_eq_u32_e32 vcc_lo, 0, v9
	v_cndmask_b32_e32 v9, v10, v8, vcc_lo
; %bb.25:                               ;   in Loop: Header=BB136_5 Depth=1
	s_or_b32 exec_lo, exec_lo, s9
	global_store_d16_hi_b16 v[6:7], v9, off
.LBB136_26:                             ;   in Loop: Header=BB136_5 Depth=1
	s_wait_xcnt 0x0
	s_or_b32 exec_lo, exec_lo, s8
	v_add_nc_u32_e32 v6, 2, v0
	s_mov_b32 s8, exec_lo
	s_delay_alu instid0(VALU_DEP_1)
	v_cmpx_gt_u32_e64 s16, v6
	s_cbranch_execz .LBB136_37
; %bb.27:                               ;   in Loop: Header=BB136_5 Depth=1
	v_mov_b32_e32 v7, v1
	s_delay_alu instid0(VALU_DEP_1) | instskip(NEXT) | instid1(VALU_DEP_1)
	v_mul_u64_e32 v[8:9], s[6:7], v[6:7]
	v_lshl_add_u64 v[8:9], v[8:9], 2, s[4:5]
	global_load_b32 v9, v[8:9], off
	s_wait_loadcnt 0x0
	v_cmp_neq_f32_e32 vcc_lo, 0, v9
	s_wait_xcnt 0x0
	s_and_b32 exec_lo, exec_lo, vcc_lo
	s_cbranch_execz .LBB136_37
; %bb.28:                               ;   in Loop: Header=BB136_5 Depth=1
	v_mul_u64_e32 v[10:11], s[12:13], v[6:7]
	v_mul_u64_e32 v[6:7], s[2:3], v[6:7]
	s_delay_alu instid0(VALU_DEP_2) | instskip(NEXT) | instid1(VALU_DEP_2)
	v_lshl_add_u64 v[10:11], v[10:11], 1, v[2:3]
	v_lshl_add_u64 v[6:7], v[6:7], 1, v[4:5]
	global_load_u16 v10, v[10:11], off
	global_load_u16 v8, v[6:7], off
	s_wait_loadcnt 0x1
	s_wait_xcnt 0x1
	v_lshlrev_b32_e32 v10, 16, v10
	s_delay_alu instid0(VALU_DEP_1) | instskip(NEXT) | instid1(VALU_DEP_1)
	v_mul_f32_e32 v9, v9, v10
	v_and_b32_e32 v10, 0x7f800000, v9
	s_delay_alu instid0(VALU_DEP_1) | instskip(SKIP_2) | instid1(SALU_CYCLE_1)
	v_cmp_ne_u32_e32 vcc_lo, 0x7f800000, v10
                                        ; implicit-def: $vgpr10
	s_wait_xcnt 0x0
	s_and_saveexec_b32 s9, vcc_lo
	s_xor_b32 s9, exec_lo, s9
; %bb.29:                               ;   in Loop: Header=BB136_5 Depth=1
	v_bfe_u32 v10, v9, 16, 1
	s_delay_alu instid0(VALU_DEP_1)
	v_add3_u32 v10, v9, v10, 0x7fff
                                        ; implicit-def: $vgpr9
; %bb.30:                               ;   in Loop: Header=BB136_5 Depth=1
	s_and_not1_saveexec_b32 s9, s9
; %bb.31:                               ;   in Loop: Header=BB136_5 Depth=1
	v_and_b32_e32 v10, 0xffff, v9
	v_or_b32_e32 v11, 0x10000, v9
	s_delay_alu instid0(VALU_DEP_2) | instskip(NEXT) | instid1(VALU_DEP_2)
	v_cmp_eq_u32_e32 vcc_lo, 0, v10
	v_cndmask_b32_e32 v10, v11, v9, vcc_lo
; %bb.32:                               ;   in Loop: Header=BB136_5 Depth=1
	s_or_b32 exec_lo, exec_lo, s9
	s_delay_alu instid0(VALU_DEP_1) | instskip(SKIP_2) | instid1(VALU_DEP_1)
	v_and_b32_e32 v9, 0xffff0000, v10
	s_wait_loadcnt 0x0
	v_lshlrev_b32_e32 v8, 16, v8
	v_add_f32_e32 v8, v8, v9
	s_delay_alu instid0(VALU_DEP_1) | instskip(NEXT) | instid1(VALU_DEP_1)
	v_and_b32_e32 v9, 0x7f800000, v8
	v_cmp_ne_u32_e32 vcc_lo, 0x7f800000, v9
                                        ; implicit-def: $vgpr9
	s_and_saveexec_b32 s9, vcc_lo
	s_delay_alu instid0(SALU_CYCLE_1)
	s_xor_b32 s9, exec_lo, s9
; %bb.33:                               ;   in Loop: Header=BB136_5 Depth=1
	v_bfe_u32 v9, v8, 16, 1
	s_delay_alu instid0(VALU_DEP_1)
	v_add3_u32 v9, v8, v9, 0x7fff
                                        ; implicit-def: $vgpr8
; %bb.34:                               ;   in Loop: Header=BB136_5 Depth=1
	s_and_not1_saveexec_b32 s9, s9
; %bb.35:                               ;   in Loop: Header=BB136_5 Depth=1
	v_and_b32_e32 v9, 0xffff, v8
	v_or_b32_e32 v10, 0x10000, v8
	s_delay_alu instid0(VALU_DEP_2) | instskip(NEXT) | instid1(VALU_DEP_2)
	v_cmp_eq_u32_e32 vcc_lo, 0, v9
	v_cndmask_b32_e32 v9, v10, v8, vcc_lo
; %bb.36:                               ;   in Loop: Header=BB136_5 Depth=1
	s_or_b32 exec_lo, exec_lo, s9
	global_store_d16_hi_b16 v[6:7], v9, off
.LBB136_37:                             ;   in Loop: Header=BB136_5 Depth=1
	s_wait_xcnt 0x0
	s_or_b32 exec_lo, exec_lo, s8
	v_add_nc_u32_e32 v6, 3, v0
	s_mov_b32 s8, exec_lo
	s_delay_alu instid0(VALU_DEP_1)
	v_cmpx_gt_u32_e64 s16, v6
	s_cbranch_execz .LBB136_4
; %bb.38:                               ;   in Loop: Header=BB136_5 Depth=1
	v_mov_b32_e32 v7, v1
	s_delay_alu instid0(VALU_DEP_1) | instskip(NEXT) | instid1(VALU_DEP_1)
	v_mul_u64_e32 v[8:9], s[6:7], v[6:7]
	v_lshl_add_u64 v[8:9], v[8:9], 2, s[4:5]
	global_load_b32 v9, v[8:9], off
	s_wait_loadcnt 0x0
	v_cmp_neq_f32_e32 vcc_lo, 0, v9
	s_wait_xcnt 0x0
	s_and_b32 exec_lo, exec_lo, vcc_lo
	s_cbranch_execz .LBB136_4
; %bb.39:                               ;   in Loop: Header=BB136_5 Depth=1
	v_mul_u64_e32 v[10:11], s[12:13], v[6:7]
	v_mul_u64_e32 v[6:7], s[2:3], v[6:7]
	s_delay_alu instid0(VALU_DEP_2) | instskip(NEXT) | instid1(VALU_DEP_2)
	v_lshl_add_u64 v[10:11], v[10:11], 1, v[2:3]
	v_lshl_add_u64 v[6:7], v[6:7], 1, v[4:5]
	global_load_u16 v10, v[10:11], off
	global_load_u16 v8, v[6:7], off
	s_wait_loadcnt 0x1
	s_wait_xcnt 0x1
	v_lshlrev_b32_e32 v10, 16, v10
	s_delay_alu instid0(VALU_DEP_1) | instskip(NEXT) | instid1(VALU_DEP_1)
	v_mul_f32_e32 v9, v9, v10
	v_and_b32_e32 v10, 0x7f800000, v9
	s_delay_alu instid0(VALU_DEP_1) | instskip(SKIP_2) | instid1(SALU_CYCLE_1)
	v_cmp_ne_u32_e32 vcc_lo, 0x7f800000, v10
                                        ; implicit-def: $vgpr10
	s_wait_xcnt 0x0
	s_and_saveexec_b32 s9, vcc_lo
	s_xor_b32 s9, exec_lo, s9
; %bb.40:                               ;   in Loop: Header=BB136_5 Depth=1
	v_bfe_u32 v10, v9, 16, 1
	s_delay_alu instid0(VALU_DEP_1)
	v_add3_u32 v10, v9, v10, 0x7fff
                                        ; implicit-def: $vgpr9
; %bb.41:                               ;   in Loop: Header=BB136_5 Depth=1
	s_and_not1_saveexec_b32 s9, s9
; %bb.42:                               ;   in Loop: Header=BB136_5 Depth=1
	v_and_b32_e32 v10, 0xffff, v9
	v_or_b32_e32 v11, 0x10000, v9
	s_delay_alu instid0(VALU_DEP_2) | instskip(NEXT) | instid1(VALU_DEP_2)
	v_cmp_eq_u32_e32 vcc_lo, 0, v10
	v_cndmask_b32_e32 v10, v11, v9, vcc_lo
; %bb.43:                               ;   in Loop: Header=BB136_5 Depth=1
	s_or_b32 exec_lo, exec_lo, s9
	s_delay_alu instid0(VALU_DEP_1) | instskip(SKIP_2) | instid1(VALU_DEP_1)
	v_and_b32_e32 v9, 0xffff0000, v10
	s_wait_loadcnt 0x0
	v_lshlrev_b32_e32 v8, 16, v8
	v_add_f32_e32 v8, v8, v9
	s_delay_alu instid0(VALU_DEP_1) | instskip(NEXT) | instid1(VALU_DEP_1)
	v_and_b32_e32 v9, 0x7f800000, v8
	v_cmp_ne_u32_e32 vcc_lo, 0x7f800000, v9
                                        ; implicit-def: $vgpr9
	s_and_saveexec_b32 s9, vcc_lo
	s_delay_alu instid0(SALU_CYCLE_1)
	s_xor_b32 s9, exec_lo, s9
; %bb.44:                               ;   in Loop: Header=BB136_5 Depth=1
	v_bfe_u32 v9, v8, 16, 1
	s_delay_alu instid0(VALU_DEP_1)
	v_add3_u32 v9, v8, v9, 0x7fff
                                        ; implicit-def: $vgpr8
; %bb.45:                               ;   in Loop: Header=BB136_5 Depth=1
	s_and_not1_saveexec_b32 s9, s9
	s_cbranch_execz .LBB136_3
; %bb.46:                               ;   in Loop: Header=BB136_5 Depth=1
	v_and_b32_e32 v9, 0xffff, v8
	v_or_b32_e32 v10, 0x10000, v8
	s_delay_alu instid0(VALU_DEP_2) | instskip(NEXT) | instid1(VALU_DEP_2)
	v_cmp_eq_u32_e32 vcc_lo, 0, v9
	v_cndmask_b32_e32 v9, v10, v8, vcc_lo
	s_branch .LBB136_3
.LBB136_47:
	s_endpgm
	.section	.rodata,"a",@progbits
	.p2align	6, 0x0
	.amdhsa_kernel _ZL27rocblas_axpy_kernel_batchedIiLi128ELi8EfPKfPK16rocblas_bfloat16PS2_EviT3_lT4_lT_lT5_lS8_li
		.amdhsa_group_segment_fixed_size 0
		.amdhsa_private_segment_fixed_size 0
		.amdhsa_kernarg_size 352
		.amdhsa_user_sgpr_count 2
		.amdhsa_user_sgpr_dispatch_ptr 0
		.amdhsa_user_sgpr_queue_ptr 0
		.amdhsa_user_sgpr_kernarg_segment_ptr 1
		.amdhsa_user_sgpr_dispatch_id 0
		.amdhsa_user_sgpr_kernarg_preload_length 0
		.amdhsa_user_sgpr_kernarg_preload_offset 0
		.amdhsa_user_sgpr_private_segment_size 0
		.amdhsa_wavefront_size32 1
		.amdhsa_uses_dynamic_stack 0
		.amdhsa_enable_private_segment 0
		.amdhsa_system_sgpr_workgroup_id_x 1
		.amdhsa_system_sgpr_workgroup_id_y 0
		.amdhsa_system_sgpr_workgroup_id_z 1
		.amdhsa_system_sgpr_workgroup_info 0
		.amdhsa_system_vgpr_workitem_id 1
		.amdhsa_next_free_vgpr 13
		.amdhsa_next_free_sgpr 23
		.amdhsa_named_barrier_count 0
		.amdhsa_reserve_vcc 1
		.amdhsa_float_round_mode_32 0
		.amdhsa_float_round_mode_16_64 0
		.amdhsa_float_denorm_mode_32 3
		.amdhsa_float_denorm_mode_16_64 3
		.amdhsa_fp16_overflow 0
		.amdhsa_memory_ordered 1
		.amdhsa_forward_progress 1
		.amdhsa_inst_pref_size 15
		.amdhsa_round_robin_scheduling 0
		.amdhsa_exception_fp_ieee_invalid_op 0
		.amdhsa_exception_fp_denorm_src 0
		.amdhsa_exception_fp_ieee_div_zero 0
		.amdhsa_exception_fp_ieee_overflow 0
		.amdhsa_exception_fp_ieee_underflow 0
		.amdhsa_exception_fp_ieee_inexact 0
		.amdhsa_exception_int_div_zero 0
	.end_amdhsa_kernel
	.section	.text._ZL27rocblas_axpy_kernel_batchedIiLi128ELi8EfPKfPK16rocblas_bfloat16PS2_EviT3_lT4_lT_lT5_lS8_li,"axG",@progbits,_ZL27rocblas_axpy_kernel_batchedIiLi128ELi8EfPKfPK16rocblas_bfloat16PS2_EviT3_lT4_lT_lT5_lS8_li,comdat
.Lfunc_end136:
	.size	_ZL27rocblas_axpy_kernel_batchedIiLi128ELi8EfPKfPK16rocblas_bfloat16PS2_EviT3_lT4_lT_lT5_lS8_li, .Lfunc_end136-_ZL27rocblas_axpy_kernel_batchedIiLi128ELi8EfPKfPK16rocblas_bfloat16PS2_EviT3_lT4_lT_lT5_lS8_li
                                        ; -- End function
	.set _ZL27rocblas_axpy_kernel_batchedIiLi128ELi8EfPKfPK16rocblas_bfloat16PS2_EviT3_lT4_lT_lT5_lS8_li.num_vgpr, 13
	.set _ZL27rocblas_axpy_kernel_batchedIiLi128ELi8EfPKfPK16rocblas_bfloat16PS2_EviT3_lT4_lT_lT5_lS8_li.num_agpr, 0
	.set _ZL27rocblas_axpy_kernel_batchedIiLi128ELi8EfPKfPK16rocblas_bfloat16PS2_EviT3_lT4_lT_lT5_lS8_li.numbered_sgpr, 23
	.set _ZL27rocblas_axpy_kernel_batchedIiLi128ELi8EfPKfPK16rocblas_bfloat16PS2_EviT3_lT4_lT_lT5_lS8_li.num_named_barrier, 0
	.set _ZL27rocblas_axpy_kernel_batchedIiLi128ELi8EfPKfPK16rocblas_bfloat16PS2_EviT3_lT4_lT_lT5_lS8_li.private_seg_size, 0
	.set _ZL27rocblas_axpy_kernel_batchedIiLi128ELi8EfPKfPK16rocblas_bfloat16PS2_EviT3_lT4_lT_lT5_lS8_li.uses_vcc, 1
	.set _ZL27rocblas_axpy_kernel_batchedIiLi128ELi8EfPKfPK16rocblas_bfloat16PS2_EviT3_lT4_lT_lT5_lS8_li.uses_flat_scratch, 0
	.set _ZL27rocblas_axpy_kernel_batchedIiLi128ELi8EfPKfPK16rocblas_bfloat16PS2_EviT3_lT4_lT_lT5_lS8_li.has_dyn_sized_stack, 0
	.set _ZL27rocblas_axpy_kernel_batchedIiLi128ELi8EfPKfPK16rocblas_bfloat16PS2_EviT3_lT4_lT_lT5_lS8_li.has_recursion, 0
	.set _ZL27rocblas_axpy_kernel_batchedIiLi128ELi8EfPKfPK16rocblas_bfloat16PS2_EviT3_lT4_lT_lT5_lS8_li.has_indirect_call, 0
	.section	.AMDGPU.csdata,"",@progbits
; Kernel info:
; codeLenInByte = 1828
; TotalNumSgprs: 25
; NumVgprs: 13
; ScratchSize: 0
; MemoryBound: 0
; FloatMode: 240
; IeeeMode: 1
; LDSByteSize: 0 bytes/workgroup (compile time only)
; SGPRBlocks: 0
; VGPRBlocks: 0
; NumSGPRsForWavesPerEU: 25
; NumVGPRsForWavesPerEU: 13
; NamedBarCnt: 0
; Occupancy: 16
; WaveLimiterHint : 0
; COMPUTE_PGM_RSRC2:SCRATCH_EN: 0
; COMPUTE_PGM_RSRC2:USER_SGPR: 2
; COMPUTE_PGM_RSRC2:TRAP_HANDLER: 0
; COMPUTE_PGM_RSRC2:TGID_X_EN: 1
; COMPUTE_PGM_RSRC2:TGID_Y_EN: 0
; COMPUTE_PGM_RSRC2:TGID_Z_EN: 1
; COMPUTE_PGM_RSRC2:TIDIG_COMP_CNT: 1
	.section	.text._ZL27rocblas_axpy_kernel_batchedIiLi128ELi8EffPK16rocblas_bfloat16PS0_EviT3_lT4_lT_lT5_lS6_li,"axG",@progbits,_ZL27rocblas_axpy_kernel_batchedIiLi128ELi8EffPK16rocblas_bfloat16PS0_EviT3_lT4_lT_lT5_lS6_li,comdat
	.globl	_ZL27rocblas_axpy_kernel_batchedIiLi128ELi8EffPK16rocblas_bfloat16PS0_EviT3_lT4_lT_lT5_lS6_li ; -- Begin function _ZL27rocblas_axpy_kernel_batchedIiLi128ELi8EffPK16rocblas_bfloat16PS0_EviT3_lT4_lT_lT5_lS6_li
	.p2align	8
	.type	_ZL27rocblas_axpy_kernel_batchedIiLi128ELi8EffPK16rocblas_bfloat16PS0_EviT3_lT4_lT_lT5_lS6_li,@function
_ZL27rocblas_axpy_kernel_batchedIiLi128ELi8EffPK16rocblas_bfloat16PS0_EviT3_lT4_lT_lT5_lS6_li: ; @_ZL27rocblas_axpy_kernel_batchedIiLi128ELi8EffPK16rocblas_bfloat16PS0_EviT3_lT4_lT_lT5_lS6_li
; %bb.0:
	s_load_b64 s[2:3], s[0:1], 0x0
	s_bfe_u32 s4, ttmp6, 0x4000c
	s_and_b32 s5, ttmp6, 15
	s_add_co_i32 s6, s4, 1
	s_getreg_b32 s4, hwreg(HW_REG_IB_STS2, 6, 4)
	s_mul_i32 s6, ttmp9, s6
	v_and_b32_e32 v1, 0x3ff, v0
	s_add_co_i32 s5, s5, s6
	s_cmp_eq_u32 s4, 0
	v_mov_b32_e32 v3, 0
	s_cselect_b32 s5, ttmp9, s5
	s_delay_alu instid0(SALU_CYCLE_1)
	v_lshl_add_u32 v2, s5, 7, v1
	s_wait_kmcnt 0x0
	s_ashr_i32 s7, s2, 31
	s_mov_b32 s6, s2
	s_mov_b32 s2, exec_lo
	v_cmpx_gt_i64_e64 s[6:7], v[2:3]
	s_cbranch_execz .LBB137_44
; %bb.1:
	s_load_b32 s2, s[0:1], 0x50
	s_bfe_u32 s5, ttmp6, 0x40014
	v_lshrrev_b32_e32 v0, 8, v0
	s_lshr_b32 s6, ttmp7, 16
	s_add_co_i32 s5, s5, 1
	s_bfe_u32 s7, ttmp6, 0x40008
	s_mul_i32 s5, s6, s5
	v_and_b32_e32 v0, 0xffc, v0
	s_add_co_i32 s7, s7, s5
	s_cmp_eq_u32 s4, 0
	s_cselect_b32 s4, s6, s7
	s_delay_alu instid0(VALU_DEP_1) | instid1(SALU_CYCLE_1)
	v_lshl_add_u32 v0, s4, 5, v0
	s_wait_kmcnt 0x0
	s_delay_alu instid0(VALU_DEP_1)
	v_cmp_gt_u32_e32 vcc_lo, s2, v0
	s_and_b32 exec_lo, exec_lo, vcc_lo
	s_cbranch_execz .LBB137_44
; %bb.2:
	s_clause 0x1
	s_load_b32 s4, s[0:1], 0x20
	s_load_b96 s[16:18], s[0:1], 0x38
	v_mov_b32_e32 v1, 0
	s_wait_kmcnt 0x0
	s_ashr_i32 s5, s4, 31
	s_ashr_i32 s7, s18, 31
	s_mov_b32 s6, s18
	v_mul_u64_e32 v[4:5], s[4:5], v[2:3]
	v_mul_u64_e32 v[6:7], s[6:7], v[2:3]
	s_clause 0x3
	s_load_b128 s[12:15], s[0:1], 0x10
	s_load_b128 s[4:7], s[0:1], 0x28
	s_load_b32 s18, s[0:1], 0x60
	s_load_b64 s[8:9], s[0:1], 0x48
	s_cmp_neq_f32 s3, 0
	s_wait_xcnt 0x0
	s_mov_b32 s1, 0
	s_cselect_b32 s0, -1, 0
	s_wait_kmcnt 0x0
	s_lshl_b64 s[10:11], s[14:15], 1
	s_lshl_b64 s[14:15], s[16:17], 1
	s_add_nc_u64 s[10:11], s[12:13], s[10:11]
	s_add_nc_u64 s[6:7], s[6:7], s[14:15]
	s_delay_alu instid0(VALU_DEP_2) | instskip(NEXT) | instid1(VALU_DEP_2)
	v_lshl_add_u64 v[2:3], v[4:5], 1, s[10:11]
	v_lshl_add_u64 v[4:5], v[6:7], 1, s[6:7]
	s_lshl_b32 s6, s18, 5
	s_branch .LBB137_5
.LBB137_3:                              ;   in Loop: Header=BB137_5 Depth=1
	s_or_b32 exec_lo, exec_lo, s10
	global_store_d16_hi_b16 v[6:7], v9, off
.LBB137_4:                              ;   in Loop: Header=BB137_5 Depth=1
	s_wait_xcnt 0x0
	s_or_b32 exec_lo, exec_lo, s7
	v_add_nc_u32_e32 v0, s6, v0
	s_delay_alu instid0(VALU_DEP_1) | instskip(SKIP_1) | instid1(SALU_CYCLE_1)
	v_cmp_le_u32_e32 vcc_lo, s2, v0
	s_or_b32 s1, vcc_lo, s1
	s_and_not1_b32 exec_lo, exec_lo, s1
	s_cbranch_execz .LBB137_44
.LBB137_5:                              ; =>This Inner Loop Header: Depth=1
	s_and_not1_b32 vcc_lo, exec_lo, s0
	s_cbranch_vccnz .LBB137_15
; %bb.6:                                ;   in Loop: Header=BB137_5 Depth=1
	v_mul_u64_e32 v[6:7], s[4:5], v[0:1]
	v_mul_u64_e32 v[8:9], s[8:9], v[0:1]
	s_delay_alu instid0(VALU_DEP_2)
	v_lshl_add_u64 v[6:7], v[6:7], 1, v[2:3]
	global_load_u16 v10, v[6:7], off
	s_wait_xcnt 0x0
	v_lshl_add_u64 v[6:7], v[8:9], 1, v[4:5]
	global_load_u16 v8, v[6:7], off
	s_wait_loadcnt 0x1
	v_lshlrev_b32_e32 v9, 16, v10
	s_delay_alu instid0(VALU_DEP_1) | instskip(NEXT) | instid1(VALU_DEP_1)
	v_mul_f32_e32 v9, s3, v9
	v_and_b32_e32 v10, 0x7f800000, v9
	s_delay_alu instid0(VALU_DEP_1) | instskip(SKIP_2) | instid1(SALU_CYCLE_1)
	v_cmp_ne_u32_e32 vcc_lo, 0x7f800000, v10
                                        ; implicit-def: $vgpr10
	s_wait_xcnt 0x0
	s_and_saveexec_b32 s7, vcc_lo
	s_xor_b32 s7, exec_lo, s7
; %bb.7:                                ;   in Loop: Header=BB137_5 Depth=1
	v_bfe_u32 v10, v9, 16, 1
	s_delay_alu instid0(VALU_DEP_1)
	v_add3_u32 v10, v9, v10, 0x7fff
                                        ; implicit-def: $vgpr9
; %bb.8:                                ;   in Loop: Header=BB137_5 Depth=1
	s_and_not1_saveexec_b32 s7, s7
; %bb.9:                                ;   in Loop: Header=BB137_5 Depth=1
	v_and_b32_e32 v10, 0xffff, v9
	v_or_b32_e32 v11, 0x10000, v9
	s_delay_alu instid0(VALU_DEP_2) | instskip(NEXT) | instid1(VALU_DEP_2)
	v_cmp_eq_u32_e32 vcc_lo, 0, v10
	v_cndmask_b32_e32 v10, v11, v9, vcc_lo
; %bb.10:                               ;   in Loop: Header=BB137_5 Depth=1
	s_or_b32 exec_lo, exec_lo, s7
	s_delay_alu instid0(VALU_DEP_1) | instskip(SKIP_2) | instid1(VALU_DEP_1)
	v_and_b32_e32 v9, 0xffff0000, v10
	s_wait_loadcnt 0x0
	v_lshlrev_b32_e32 v8, 16, v8
	v_add_f32_e32 v8, v8, v9
	s_delay_alu instid0(VALU_DEP_1) | instskip(NEXT) | instid1(VALU_DEP_1)
	v_and_b32_e32 v9, 0x7f800000, v8
	v_cmp_ne_u32_e32 vcc_lo, 0x7f800000, v9
                                        ; implicit-def: $vgpr9
	s_and_saveexec_b32 s7, vcc_lo
	s_delay_alu instid0(SALU_CYCLE_1)
	s_xor_b32 s7, exec_lo, s7
; %bb.11:                               ;   in Loop: Header=BB137_5 Depth=1
	v_bfe_u32 v9, v8, 16, 1
	s_delay_alu instid0(VALU_DEP_1)
	v_add3_u32 v9, v8, v9, 0x7fff
                                        ; implicit-def: $vgpr8
; %bb.12:                               ;   in Loop: Header=BB137_5 Depth=1
	s_and_not1_saveexec_b32 s7, s7
; %bb.13:                               ;   in Loop: Header=BB137_5 Depth=1
	v_and_b32_e32 v9, 0xffff, v8
	v_or_b32_e32 v10, 0x10000, v8
	s_delay_alu instid0(VALU_DEP_2) | instskip(NEXT) | instid1(VALU_DEP_2)
	v_cmp_eq_u32_e32 vcc_lo, 0, v9
	v_cndmask_b32_e32 v9, v10, v8, vcc_lo
; %bb.14:                               ;   in Loop: Header=BB137_5 Depth=1
	s_or_b32 exec_lo, exec_lo, s7
	global_store_d16_hi_b16 v[6:7], v9, off
.LBB137_15:                             ;   in Loop: Header=BB137_5 Depth=1
	s_wait_xcnt 0x0
	v_add_nc_u32_e32 v6, 1, v0
	s_delay_alu instid0(VALU_DEP_1) | instskip(SKIP_1) | instid1(SALU_CYCLE_1)
	v_cmp_gt_u32_e32 vcc_lo, s2, v6
	s_and_b32 s10, s0, vcc_lo
	s_and_saveexec_b32 s7, s10
	s_cbranch_execz .LBB137_25
; %bb.16:                               ;   in Loop: Header=BB137_5 Depth=1
	v_mov_b32_e32 v7, v1
	s_delay_alu instid0(VALU_DEP_1) | instskip(NEXT) | instid1(VALU_DEP_1)
	v_mul_u64_e32 v[8:9], s[4:5], v[6:7]
	v_lshl_add_u64 v[8:9], v[8:9], 1, v[2:3]
	global_load_u16 v9, v[8:9], off
	s_wait_loadcnt 0x0
	v_lshlrev_b32_e32 v9, 16, v9
	v_mul_u64_e32 v[6:7], s[8:9], v[6:7]
	s_delay_alu instid0(VALU_DEP_2) | instskip(NEXT) | instid1(VALU_DEP_1)
	v_mul_f32_e32 v9, s3, v9
	v_and_b32_e32 v10, 0x7f800000, v9
	s_delay_alu instid0(VALU_DEP_1) | instskip(NEXT) | instid1(VALU_DEP_4)
	v_cmp_ne_u32_e32 vcc_lo, 0x7f800000, v10
                                        ; implicit-def: $vgpr10
	v_lshl_add_u64 v[6:7], v[6:7], 1, v[4:5]
	global_load_u16 v8, v[6:7], off
	s_wait_xcnt 0x0
	s_and_saveexec_b32 s10, vcc_lo
	s_delay_alu instid0(SALU_CYCLE_1)
	s_xor_b32 s10, exec_lo, s10
; %bb.17:                               ;   in Loop: Header=BB137_5 Depth=1
	v_bfe_u32 v10, v9, 16, 1
	s_delay_alu instid0(VALU_DEP_1)
	v_add3_u32 v10, v9, v10, 0x7fff
                                        ; implicit-def: $vgpr9
; %bb.18:                               ;   in Loop: Header=BB137_5 Depth=1
	s_and_not1_saveexec_b32 s10, s10
; %bb.19:                               ;   in Loop: Header=BB137_5 Depth=1
	v_and_b32_e32 v10, 0xffff, v9
	v_or_b32_e32 v11, 0x10000, v9
	s_delay_alu instid0(VALU_DEP_2) | instskip(NEXT) | instid1(VALU_DEP_2)
	v_cmp_eq_u32_e32 vcc_lo, 0, v10
	v_cndmask_b32_e32 v10, v11, v9, vcc_lo
; %bb.20:                               ;   in Loop: Header=BB137_5 Depth=1
	s_or_b32 exec_lo, exec_lo, s10
	s_delay_alu instid0(VALU_DEP_1) | instskip(SKIP_2) | instid1(VALU_DEP_1)
	v_and_b32_e32 v9, 0xffff0000, v10
	s_wait_loadcnt 0x0
	v_lshlrev_b32_e32 v8, 16, v8
	v_add_f32_e32 v8, v8, v9
	s_delay_alu instid0(VALU_DEP_1) | instskip(NEXT) | instid1(VALU_DEP_1)
	v_and_b32_e32 v9, 0x7f800000, v8
	v_cmp_ne_u32_e32 vcc_lo, 0x7f800000, v9
                                        ; implicit-def: $vgpr9
	s_and_saveexec_b32 s10, vcc_lo
	s_delay_alu instid0(SALU_CYCLE_1)
	s_xor_b32 s10, exec_lo, s10
; %bb.21:                               ;   in Loop: Header=BB137_5 Depth=1
	v_bfe_u32 v9, v8, 16, 1
	s_delay_alu instid0(VALU_DEP_1)
	v_add3_u32 v9, v8, v9, 0x7fff
                                        ; implicit-def: $vgpr8
; %bb.22:                               ;   in Loop: Header=BB137_5 Depth=1
	s_and_not1_saveexec_b32 s10, s10
; %bb.23:                               ;   in Loop: Header=BB137_5 Depth=1
	v_and_b32_e32 v9, 0xffff, v8
	v_or_b32_e32 v10, 0x10000, v8
	s_delay_alu instid0(VALU_DEP_2) | instskip(NEXT) | instid1(VALU_DEP_2)
	v_cmp_eq_u32_e32 vcc_lo, 0, v9
	v_cndmask_b32_e32 v9, v10, v8, vcc_lo
; %bb.24:                               ;   in Loop: Header=BB137_5 Depth=1
	s_or_b32 exec_lo, exec_lo, s10
	global_store_d16_hi_b16 v[6:7], v9, off
.LBB137_25:                             ;   in Loop: Header=BB137_5 Depth=1
	s_wait_xcnt 0x0
	s_or_b32 exec_lo, exec_lo, s7
	v_add_nc_u32_e32 v6, 2, v0
	s_delay_alu instid0(VALU_DEP_1) | instskip(SKIP_1) | instid1(SALU_CYCLE_1)
	v_cmp_gt_u32_e32 vcc_lo, s2, v6
	s_and_b32 s10, s0, vcc_lo
	s_and_saveexec_b32 s7, s10
	s_cbranch_execz .LBB137_35
; %bb.26:                               ;   in Loop: Header=BB137_5 Depth=1
	v_mov_b32_e32 v7, v1
	s_delay_alu instid0(VALU_DEP_1) | instskip(NEXT) | instid1(VALU_DEP_1)
	v_mul_u64_e32 v[8:9], s[4:5], v[6:7]
	v_lshl_add_u64 v[8:9], v[8:9], 1, v[2:3]
	global_load_u16 v9, v[8:9], off
	s_wait_loadcnt 0x0
	v_lshlrev_b32_e32 v9, 16, v9
	v_mul_u64_e32 v[6:7], s[8:9], v[6:7]
	s_delay_alu instid0(VALU_DEP_2) | instskip(NEXT) | instid1(VALU_DEP_1)
	v_mul_f32_e32 v9, s3, v9
	v_and_b32_e32 v10, 0x7f800000, v9
	s_delay_alu instid0(VALU_DEP_1) | instskip(NEXT) | instid1(VALU_DEP_4)
	v_cmp_ne_u32_e32 vcc_lo, 0x7f800000, v10
                                        ; implicit-def: $vgpr10
	v_lshl_add_u64 v[6:7], v[6:7], 1, v[4:5]
	global_load_u16 v8, v[6:7], off
	s_wait_xcnt 0x0
	s_and_saveexec_b32 s10, vcc_lo
	s_delay_alu instid0(SALU_CYCLE_1)
	s_xor_b32 s10, exec_lo, s10
; %bb.27:                               ;   in Loop: Header=BB137_5 Depth=1
	v_bfe_u32 v10, v9, 16, 1
	s_delay_alu instid0(VALU_DEP_1)
	v_add3_u32 v10, v9, v10, 0x7fff
                                        ; implicit-def: $vgpr9
; %bb.28:                               ;   in Loop: Header=BB137_5 Depth=1
	s_and_not1_saveexec_b32 s10, s10
; %bb.29:                               ;   in Loop: Header=BB137_5 Depth=1
	v_and_b32_e32 v10, 0xffff, v9
	v_or_b32_e32 v11, 0x10000, v9
	s_delay_alu instid0(VALU_DEP_2) | instskip(NEXT) | instid1(VALU_DEP_2)
	v_cmp_eq_u32_e32 vcc_lo, 0, v10
	v_cndmask_b32_e32 v10, v11, v9, vcc_lo
; %bb.30:                               ;   in Loop: Header=BB137_5 Depth=1
	s_or_b32 exec_lo, exec_lo, s10
	s_delay_alu instid0(VALU_DEP_1) | instskip(SKIP_2) | instid1(VALU_DEP_1)
	v_and_b32_e32 v9, 0xffff0000, v10
	s_wait_loadcnt 0x0
	v_lshlrev_b32_e32 v8, 16, v8
	v_add_f32_e32 v8, v8, v9
	s_delay_alu instid0(VALU_DEP_1) | instskip(NEXT) | instid1(VALU_DEP_1)
	v_and_b32_e32 v9, 0x7f800000, v8
	v_cmp_ne_u32_e32 vcc_lo, 0x7f800000, v9
                                        ; implicit-def: $vgpr9
	s_and_saveexec_b32 s10, vcc_lo
	s_delay_alu instid0(SALU_CYCLE_1)
	s_xor_b32 s10, exec_lo, s10
; %bb.31:                               ;   in Loop: Header=BB137_5 Depth=1
	v_bfe_u32 v9, v8, 16, 1
	s_delay_alu instid0(VALU_DEP_1)
	v_add3_u32 v9, v8, v9, 0x7fff
                                        ; implicit-def: $vgpr8
; %bb.32:                               ;   in Loop: Header=BB137_5 Depth=1
	s_and_not1_saveexec_b32 s10, s10
; %bb.33:                               ;   in Loop: Header=BB137_5 Depth=1
	v_and_b32_e32 v9, 0xffff, v8
	v_or_b32_e32 v10, 0x10000, v8
	s_delay_alu instid0(VALU_DEP_2) | instskip(NEXT) | instid1(VALU_DEP_2)
	v_cmp_eq_u32_e32 vcc_lo, 0, v9
	v_cndmask_b32_e32 v9, v10, v8, vcc_lo
; %bb.34:                               ;   in Loop: Header=BB137_5 Depth=1
	s_or_b32 exec_lo, exec_lo, s10
	global_store_d16_hi_b16 v[6:7], v9, off
.LBB137_35:                             ;   in Loop: Header=BB137_5 Depth=1
	s_wait_xcnt 0x0
	s_or_b32 exec_lo, exec_lo, s7
	v_add_nc_u32_e32 v6, 3, v0
	s_delay_alu instid0(VALU_DEP_1) | instskip(SKIP_1) | instid1(SALU_CYCLE_1)
	v_cmp_gt_u32_e32 vcc_lo, s2, v6
	s_and_b32 s10, s0, vcc_lo
	s_and_saveexec_b32 s7, s10
	s_cbranch_execz .LBB137_4
; %bb.36:                               ;   in Loop: Header=BB137_5 Depth=1
	v_mov_b32_e32 v7, v1
	s_delay_alu instid0(VALU_DEP_1) | instskip(NEXT) | instid1(VALU_DEP_1)
	v_mul_u64_e32 v[8:9], s[4:5], v[6:7]
	v_lshl_add_u64 v[8:9], v[8:9], 1, v[2:3]
	global_load_u16 v9, v[8:9], off
	s_wait_loadcnt 0x0
	v_lshlrev_b32_e32 v9, 16, v9
	v_mul_u64_e32 v[6:7], s[8:9], v[6:7]
	s_delay_alu instid0(VALU_DEP_2) | instskip(NEXT) | instid1(VALU_DEP_1)
	v_mul_f32_e32 v9, s3, v9
	v_and_b32_e32 v10, 0x7f800000, v9
	s_delay_alu instid0(VALU_DEP_1) | instskip(NEXT) | instid1(VALU_DEP_4)
	v_cmp_ne_u32_e32 vcc_lo, 0x7f800000, v10
                                        ; implicit-def: $vgpr10
	v_lshl_add_u64 v[6:7], v[6:7], 1, v[4:5]
	global_load_u16 v8, v[6:7], off
	s_wait_xcnt 0x0
	s_and_saveexec_b32 s10, vcc_lo
	s_delay_alu instid0(SALU_CYCLE_1)
	s_xor_b32 s10, exec_lo, s10
; %bb.37:                               ;   in Loop: Header=BB137_5 Depth=1
	v_bfe_u32 v10, v9, 16, 1
	s_delay_alu instid0(VALU_DEP_1)
	v_add3_u32 v10, v9, v10, 0x7fff
                                        ; implicit-def: $vgpr9
; %bb.38:                               ;   in Loop: Header=BB137_5 Depth=1
	s_and_not1_saveexec_b32 s10, s10
; %bb.39:                               ;   in Loop: Header=BB137_5 Depth=1
	v_and_b32_e32 v10, 0xffff, v9
	v_or_b32_e32 v11, 0x10000, v9
	s_delay_alu instid0(VALU_DEP_2) | instskip(NEXT) | instid1(VALU_DEP_2)
	v_cmp_eq_u32_e32 vcc_lo, 0, v10
	v_cndmask_b32_e32 v10, v11, v9, vcc_lo
; %bb.40:                               ;   in Loop: Header=BB137_5 Depth=1
	s_or_b32 exec_lo, exec_lo, s10
	s_delay_alu instid0(VALU_DEP_1) | instskip(SKIP_2) | instid1(VALU_DEP_1)
	v_and_b32_e32 v9, 0xffff0000, v10
	s_wait_loadcnt 0x0
	v_lshlrev_b32_e32 v8, 16, v8
	v_add_f32_e32 v8, v8, v9
	s_delay_alu instid0(VALU_DEP_1) | instskip(NEXT) | instid1(VALU_DEP_1)
	v_and_b32_e32 v9, 0x7f800000, v8
	v_cmp_ne_u32_e32 vcc_lo, 0x7f800000, v9
                                        ; implicit-def: $vgpr9
	s_and_saveexec_b32 s10, vcc_lo
	s_delay_alu instid0(SALU_CYCLE_1)
	s_xor_b32 s10, exec_lo, s10
; %bb.41:                               ;   in Loop: Header=BB137_5 Depth=1
	v_bfe_u32 v9, v8, 16, 1
	s_delay_alu instid0(VALU_DEP_1)
	v_add3_u32 v9, v8, v9, 0x7fff
                                        ; implicit-def: $vgpr8
; %bb.42:                               ;   in Loop: Header=BB137_5 Depth=1
	s_and_not1_saveexec_b32 s10, s10
	s_cbranch_execz .LBB137_3
; %bb.43:                               ;   in Loop: Header=BB137_5 Depth=1
	v_and_b32_e32 v9, 0xffff, v8
	v_or_b32_e32 v10, 0x10000, v8
	s_delay_alu instid0(VALU_DEP_2) | instskip(NEXT) | instid1(VALU_DEP_2)
	v_cmp_eq_u32_e32 vcc_lo, 0, v9
	v_cndmask_b32_e32 v9, v10, v8, vcc_lo
	s_branch .LBB137_3
.LBB137_44:
	s_endpgm
	.section	.rodata,"a",@progbits
	.p2align	6, 0x0
	.amdhsa_kernel _ZL27rocblas_axpy_kernel_batchedIiLi128ELi8EffPK16rocblas_bfloat16PS0_EviT3_lT4_lT_lT5_lS6_li
		.amdhsa_group_segment_fixed_size 0
		.amdhsa_private_segment_fixed_size 0
		.amdhsa_kernarg_size 344
		.amdhsa_user_sgpr_count 2
		.amdhsa_user_sgpr_dispatch_ptr 0
		.amdhsa_user_sgpr_queue_ptr 0
		.amdhsa_user_sgpr_kernarg_segment_ptr 1
		.amdhsa_user_sgpr_dispatch_id 0
		.amdhsa_user_sgpr_kernarg_preload_length 0
		.amdhsa_user_sgpr_kernarg_preload_offset 0
		.amdhsa_user_sgpr_private_segment_size 0
		.amdhsa_wavefront_size32 1
		.amdhsa_uses_dynamic_stack 0
		.amdhsa_enable_private_segment 0
		.amdhsa_system_sgpr_workgroup_id_x 1
		.amdhsa_system_sgpr_workgroup_id_y 0
		.amdhsa_system_sgpr_workgroup_id_z 1
		.amdhsa_system_sgpr_workgroup_info 0
		.amdhsa_system_vgpr_workitem_id 1
		.amdhsa_next_free_vgpr 12
		.amdhsa_next_free_sgpr 19
		.amdhsa_named_barrier_count 0
		.amdhsa_reserve_vcc 1
		.amdhsa_float_round_mode_32 0
		.amdhsa_float_round_mode_16_64 0
		.amdhsa_float_denorm_mode_32 3
		.amdhsa_float_denorm_mode_16_64 3
		.amdhsa_fp16_overflow 0
		.amdhsa_memory_ordered 1
		.amdhsa_forward_progress 1
		.amdhsa_inst_pref_size 13
		.amdhsa_round_robin_scheduling 0
		.amdhsa_exception_fp_ieee_invalid_op 0
		.amdhsa_exception_fp_denorm_src 0
		.amdhsa_exception_fp_ieee_div_zero 0
		.amdhsa_exception_fp_ieee_overflow 0
		.amdhsa_exception_fp_ieee_underflow 0
		.amdhsa_exception_fp_ieee_inexact 0
		.amdhsa_exception_int_div_zero 0
	.end_amdhsa_kernel
	.section	.text._ZL27rocblas_axpy_kernel_batchedIiLi128ELi8EffPK16rocblas_bfloat16PS0_EviT3_lT4_lT_lT5_lS6_li,"axG",@progbits,_ZL27rocblas_axpy_kernel_batchedIiLi128ELi8EffPK16rocblas_bfloat16PS0_EviT3_lT4_lT_lT5_lS6_li,comdat
.Lfunc_end137:
	.size	_ZL27rocblas_axpy_kernel_batchedIiLi128ELi8EffPK16rocblas_bfloat16PS0_EviT3_lT4_lT_lT5_lS6_li, .Lfunc_end137-_ZL27rocblas_axpy_kernel_batchedIiLi128ELi8EffPK16rocblas_bfloat16PS0_EviT3_lT4_lT_lT5_lS6_li
                                        ; -- End function
	.set _ZL27rocblas_axpy_kernel_batchedIiLi128ELi8EffPK16rocblas_bfloat16PS0_EviT3_lT4_lT_lT5_lS6_li.num_vgpr, 12
	.set _ZL27rocblas_axpy_kernel_batchedIiLi128ELi8EffPK16rocblas_bfloat16PS0_EviT3_lT4_lT_lT5_lS6_li.num_agpr, 0
	.set _ZL27rocblas_axpy_kernel_batchedIiLi128ELi8EffPK16rocblas_bfloat16PS0_EviT3_lT4_lT_lT5_lS6_li.numbered_sgpr, 19
	.set _ZL27rocblas_axpy_kernel_batchedIiLi128ELi8EffPK16rocblas_bfloat16PS0_EviT3_lT4_lT_lT5_lS6_li.num_named_barrier, 0
	.set _ZL27rocblas_axpy_kernel_batchedIiLi128ELi8EffPK16rocblas_bfloat16PS0_EviT3_lT4_lT_lT5_lS6_li.private_seg_size, 0
	.set _ZL27rocblas_axpy_kernel_batchedIiLi128ELi8EffPK16rocblas_bfloat16PS0_EviT3_lT4_lT_lT5_lS6_li.uses_vcc, 1
	.set _ZL27rocblas_axpy_kernel_batchedIiLi128ELi8EffPK16rocblas_bfloat16PS0_EviT3_lT4_lT_lT5_lS6_li.uses_flat_scratch, 0
	.set _ZL27rocblas_axpy_kernel_batchedIiLi128ELi8EffPK16rocblas_bfloat16PS0_EviT3_lT4_lT_lT5_lS6_li.has_dyn_sized_stack, 0
	.set _ZL27rocblas_axpy_kernel_batchedIiLi128ELi8EffPK16rocblas_bfloat16PS0_EviT3_lT4_lT_lT5_lS6_li.has_recursion, 0
	.set _ZL27rocblas_axpy_kernel_batchedIiLi128ELi8EffPK16rocblas_bfloat16PS0_EviT3_lT4_lT_lT5_lS6_li.has_indirect_call, 0
	.section	.AMDGPU.csdata,"",@progbits
; Kernel info:
; codeLenInByte = 1660
; TotalNumSgprs: 21
; NumVgprs: 12
; ScratchSize: 0
; MemoryBound: 0
; FloatMode: 240
; IeeeMode: 1
; LDSByteSize: 0 bytes/workgroup (compile time only)
; SGPRBlocks: 0
; VGPRBlocks: 0
; NumSGPRsForWavesPerEU: 21
; NumVGPRsForWavesPerEU: 12
; NamedBarCnt: 0
; Occupancy: 16
; WaveLimiterHint : 0
; COMPUTE_PGM_RSRC2:SCRATCH_EN: 0
; COMPUTE_PGM_RSRC2:USER_SGPR: 2
; COMPUTE_PGM_RSRC2:TRAP_HANDLER: 0
; COMPUTE_PGM_RSRC2:TGID_X_EN: 1
; COMPUTE_PGM_RSRC2:TGID_Y_EN: 0
; COMPUTE_PGM_RSRC2:TGID_Z_EN: 1
; COMPUTE_PGM_RSRC2:TIDIG_COMP_CNT: 1
	.section	.text._ZL19rocblas_axpy_kernelIiLi256EfPKfPK16rocblas_bfloat16PS2_EviT2_lT3_lT_lT4_lS8_li,"axG",@progbits,_ZL19rocblas_axpy_kernelIiLi256EfPKfPK16rocblas_bfloat16PS2_EviT2_lT3_lT_lT4_lS8_li,comdat
	.globl	_ZL19rocblas_axpy_kernelIiLi256EfPKfPK16rocblas_bfloat16PS2_EviT2_lT3_lT_lT4_lS8_li ; -- Begin function _ZL19rocblas_axpy_kernelIiLi256EfPKfPK16rocblas_bfloat16PS2_EviT2_lT3_lT_lT4_lS8_li
	.p2align	8
	.type	_ZL19rocblas_axpy_kernelIiLi256EfPKfPK16rocblas_bfloat16PS2_EviT2_lT3_lT_lT4_lS8_li,@function
_ZL19rocblas_axpy_kernelIiLi256EfPKfPK16rocblas_bfloat16PS2_EviT2_lT3_lT_lT4_lS8_li: ; @_ZL19rocblas_axpy_kernelIiLi256EfPKfPK16rocblas_bfloat16PS2_EviT2_lT3_lT_lT4_lS8_li
; %bb.0:
	s_load_b32 s18, s[0:1], 0x58
	s_bfe_u32 s2, ttmp6, 0x40014
	s_lshr_b32 s3, ttmp7, 16
	s_add_co_i32 s2, s2, 1
	s_bfe_u32 s4, ttmp6, 0x40008
	s_mul_i32 s2, s3, s2
	s_getreg_b32 s12, hwreg(HW_REG_IB_STS2, 6, 4)
	s_add_co_i32 s4, s4, s2
	s_cmp_eq_u32 s12, 0
	s_cselect_b32 s2, s3, s4
	s_mov_b32 s3, 0
	s_wait_kmcnt 0x0
	s_cmp_ge_u32 s2, s18
	s_cbranch_scc1 .LBB138_13
; %bb.1:
	s_clause 0x3
	s_load_b32 s24, s[0:1], 0x0
	s_load_b32 s14, s[0:1], 0x28
	s_load_b96 s[20:22], s[0:1], 0x40
	s_load_b256 s[4:11], s[0:1], 0x8
	s_bfe_u32 s13, ttmp6, 0x4000c
	s_and_b32 s15, ttmp6, 15
	s_add_co_i32 s13, s13, 1
	v_mov_b32_e32 v1, 0
	s_mul_i32 s13, ttmp9, s13
	s_load_b64 s[16:17], s[0:1], 0x50
	s_add_co_i32 s19, s15, s13
	s_wait_kmcnt 0x0
	s_ashr_i32 s25, s24, 31
	s_ashr_i32 s15, s14, 31
	;; [unrolled: 1-line block ×3, first 2 shown]
	s_lshl_b64 s[20:21], s[20:21], 1
	s_lshl_b64 s[10:11], s[10:11], 1
	s_cmp_eq_u32 s12, 0
	s_add_nc_u64 s[8:9], s[8:9], s[10:11]
	s_cselect_b32 s12, ttmp9, s19
	s_delay_alu instid0(SALU_CYCLE_1) | instskip(SKIP_1) | instid1(VALU_DEP_1)
	v_lshl_or_b32 v0, s12, 8, v0
	s_mov_b32 s12, s22
	v_mul_u64_e32 v[2:3], s[14:15], v[0:1]
	v_mul_u64_e32 v[4:5], s[12:13], v[0:1]
	s_load_b128 s[12:15], s[0:1], 0x30
	v_cmp_gt_i64_e32 vcc_lo, s[24:25], v[0:1]
	s_wait_kmcnt 0x0
	s_add_nc_u64 s[0:1], s[14:15], s[20:21]
	s_delay_alu instid0(VALU_DEP_3) | instskip(NEXT) | instid1(VALU_DEP_3)
	v_lshl_add_u64 v[0:1], v[2:3], 1, s[8:9]
	v_lshl_add_u64 v[2:3], v[4:5], 1, s[0:1]
	s_branch .LBB138_4
.LBB138_2:                              ;   in Loop: Header=BB138_4 Depth=1
	s_or_b32 exec_lo, exec_lo, s8
	global_store_d16_hi_b16 v[4:5], v7, off
.LBB138_3:                              ;   in Loop: Header=BB138_4 Depth=1
	s_wait_xcnt 0x0
	s_or_b32 exec_lo, exec_lo, s1
	s_add_co_i32 s2, s2, 0x10000
	s_delay_alu instid0(SALU_CYCLE_1)
	s_cmp_lt_u32 s2, s18
	s_cbranch_scc0 .LBB138_13
.LBB138_4:                              ; =>This Inner Loop Header: Depth=1
	s_mul_u64 s[0:1], s[6:7], s[2:3]
	s_delay_alu instid0(SALU_CYCLE_1) | instskip(NEXT) | instid1(SALU_CYCLE_1)
	s_lshl_b64 s[0:1], s[0:1], 2
	s_add_nc_u64 s[0:1], s[4:5], s[0:1]
	s_load_b32 s0, s[0:1], 0x0
	s_wait_kmcnt 0x0
	s_cmp_neq_f32 s0, 0
	s_wait_xcnt 0x0
	s_cselect_b32 s1, -1, 0
	s_delay_alu instid0(SALU_CYCLE_1) | instskip(NEXT) | instid1(SALU_CYCLE_1)
	s_and_b32 s8, vcc_lo, s1
	s_and_saveexec_b32 s1, s8
	s_cbranch_execz .LBB138_3
; %bb.5:                                ;   in Loop: Header=BB138_4 Depth=1
	s_mul_u64 s[8:9], s[12:13], s[2:3]
	s_delay_alu instid0(SALU_CYCLE_1)
	v_lshl_add_u64 v[4:5], s[8:9], 1, v[0:1]
	s_mul_u64 s[8:9], s[16:17], s[2:3]
	global_load_u16 v7, v[4:5], off
	s_wait_xcnt 0x0
	v_lshl_add_u64 v[4:5], s[8:9], 1, v[2:3]
	global_load_u16 v6, v[4:5], off
	s_wait_loadcnt 0x1
	v_lshlrev_b32_e32 v7, 16, v7
	s_delay_alu instid0(VALU_DEP_1) | instskip(NEXT) | instid1(VALU_DEP_1)
	v_mul_f32_e32 v7, s0, v7
	v_and_b32_e32 v8, 0x7f800000, v7
	s_delay_alu instid0(VALU_DEP_1) | instskip(SKIP_2) | instid1(SALU_CYCLE_1)
	v_cmp_ne_u32_e64 s0, 0x7f800000, v8
                                        ; implicit-def: $vgpr8
	s_wait_xcnt 0x0
	s_and_saveexec_b32 s8, s0
	s_xor_b32 s0, exec_lo, s8
; %bb.6:                                ;   in Loop: Header=BB138_4 Depth=1
	v_bfe_u32 v8, v7, 16, 1
	s_delay_alu instid0(VALU_DEP_1)
	v_add3_u32 v8, v7, v8, 0x7fff
                                        ; implicit-def: $vgpr7
; %bb.7:                                ;   in Loop: Header=BB138_4 Depth=1
	s_and_not1_saveexec_b32 s8, s0
; %bb.8:                                ;   in Loop: Header=BB138_4 Depth=1
	v_and_b32_e32 v8, 0xffff, v7
	v_or_b32_e32 v9, 0x10000, v7
	s_delay_alu instid0(VALU_DEP_2) | instskip(NEXT) | instid1(VALU_DEP_1)
	v_cmp_eq_u32_e64 s0, 0, v8
	v_cndmask_b32_e64 v8, v9, v7, s0
; %bb.9:                                ;   in Loop: Header=BB138_4 Depth=1
	s_or_b32 exec_lo, exec_lo, s8
	s_delay_alu instid0(VALU_DEP_1) | instskip(SKIP_2) | instid1(VALU_DEP_1)
	v_and_b32_e32 v7, 0xffff0000, v8
	s_wait_loadcnt 0x0
	v_lshlrev_b32_e32 v6, 16, v6
	v_add_f32_e32 v6, v6, v7
	s_delay_alu instid0(VALU_DEP_1) | instskip(NEXT) | instid1(VALU_DEP_1)
	v_and_b32_e32 v7, 0x7f800000, v6
	v_cmp_ne_u32_e64 s0, 0x7f800000, v7
                                        ; implicit-def: $vgpr7
	s_and_saveexec_b32 s8, s0
	s_delay_alu instid0(SALU_CYCLE_1)
	s_xor_b32 s0, exec_lo, s8
; %bb.10:                               ;   in Loop: Header=BB138_4 Depth=1
	v_bfe_u32 v7, v6, 16, 1
	s_delay_alu instid0(VALU_DEP_1)
	v_add3_u32 v7, v6, v7, 0x7fff
                                        ; implicit-def: $vgpr6
; %bb.11:                               ;   in Loop: Header=BB138_4 Depth=1
	s_and_not1_saveexec_b32 s8, s0
	s_cbranch_execz .LBB138_2
; %bb.12:                               ;   in Loop: Header=BB138_4 Depth=1
	v_and_b32_e32 v7, 0xffff, v6
	v_or_b32_e32 v8, 0x10000, v6
	s_delay_alu instid0(VALU_DEP_2) | instskip(NEXT) | instid1(VALU_DEP_1)
	v_cmp_eq_u32_e64 s0, 0, v7
	v_cndmask_b32_e64 v7, v8, v6, s0
	s_branch .LBB138_2
.LBB138_13:
	s_endpgm
	.section	.rodata,"a",@progbits
	.p2align	6, 0x0
	.amdhsa_kernel _ZL19rocblas_axpy_kernelIiLi256EfPKfPK16rocblas_bfloat16PS2_EviT2_lT3_lT_lT4_lS8_li
		.amdhsa_group_segment_fixed_size 0
		.amdhsa_private_segment_fixed_size 0
		.amdhsa_kernarg_size 92
		.amdhsa_user_sgpr_count 2
		.amdhsa_user_sgpr_dispatch_ptr 0
		.amdhsa_user_sgpr_queue_ptr 0
		.amdhsa_user_sgpr_kernarg_segment_ptr 1
		.amdhsa_user_sgpr_dispatch_id 0
		.amdhsa_user_sgpr_kernarg_preload_length 0
		.amdhsa_user_sgpr_kernarg_preload_offset 0
		.amdhsa_user_sgpr_private_segment_size 0
		.amdhsa_wavefront_size32 1
		.amdhsa_uses_dynamic_stack 0
		.amdhsa_enable_private_segment 0
		.amdhsa_system_sgpr_workgroup_id_x 1
		.amdhsa_system_sgpr_workgroup_id_y 0
		.amdhsa_system_sgpr_workgroup_id_z 1
		.amdhsa_system_sgpr_workgroup_info 0
		.amdhsa_system_vgpr_workitem_id 0
		.amdhsa_next_free_vgpr 10
		.amdhsa_next_free_sgpr 26
		.amdhsa_named_barrier_count 0
		.amdhsa_reserve_vcc 1
		.amdhsa_float_round_mode_32 0
		.amdhsa_float_round_mode_16_64 0
		.amdhsa_float_denorm_mode_32 3
		.amdhsa_float_denorm_mode_16_64 3
		.amdhsa_fp16_overflow 0
		.amdhsa_memory_ordered 1
		.amdhsa_forward_progress 1
		.amdhsa_inst_pref_size 6
		.amdhsa_round_robin_scheduling 0
		.amdhsa_exception_fp_ieee_invalid_op 0
		.amdhsa_exception_fp_denorm_src 0
		.amdhsa_exception_fp_ieee_div_zero 0
		.amdhsa_exception_fp_ieee_overflow 0
		.amdhsa_exception_fp_ieee_underflow 0
		.amdhsa_exception_fp_ieee_inexact 0
		.amdhsa_exception_int_div_zero 0
	.end_amdhsa_kernel
	.section	.text._ZL19rocblas_axpy_kernelIiLi256EfPKfPK16rocblas_bfloat16PS2_EviT2_lT3_lT_lT4_lS8_li,"axG",@progbits,_ZL19rocblas_axpy_kernelIiLi256EfPKfPK16rocblas_bfloat16PS2_EviT2_lT3_lT_lT4_lS8_li,comdat
.Lfunc_end138:
	.size	_ZL19rocblas_axpy_kernelIiLi256EfPKfPK16rocblas_bfloat16PS2_EviT2_lT3_lT_lT4_lS8_li, .Lfunc_end138-_ZL19rocblas_axpy_kernelIiLi256EfPKfPK16rocblas_bfloat16PS2_EviT2_lT3_lT_lT4_lS8_li
                                        ; -- End function
	.set _ZL19rocblas_axpy_kernelIiLi256EfPKfPK16rocblas_bfloat16PS2_EviT2_lT3_lT_lT4_lS8_li.num_vgpr, 10
	.set _ZL19rocblas_axpy_kernelIiLi256EfPKfPK16rocblas_bfloat16PS2_EviT2_lT3_lT_lT4_lS8_li.num_agpr, 0
	.set _ZL19rocblas_axpy_kernelIiLi256EfPKfPK16rocblas_bfloat16PS2_EviT2_lT3_lT_lT4_lS8_li.numbered_sgpr, 26
	.set _ZL19rocblas_axpy_kernelIiLi256EfPKfPK16rocblas_bfloat16PS2_EviT2_lT3_lT_lT4_lS8_li.num_named_barrier, 0
	.set _ZL19rocblas_axpy_kernelIiLi256EfPKfPK16rocblas_bfloat16PS2_EviT2_lT3_lT_lT4_lS8_li.private_seg_size, 0
	.set _ZL19rocblas_axpy_kernelIiLi256EfPKfPK16rocblas_bfloat16PS2_EviT2_lT3_lT_lT4_lS8_li.uses_vcc, 1
	.set _ZL19rocblas_axpy_kernelIiLi256EfPKfPK16rocblas_bfloat16PS2_EviT2_lT3_lT_lT4_lS8_li.uses_flat_scratch, 0
	.set _ZL19rocblas_axpy_kernelIiLi256EfPKfPK16rocblas_bfloat16PS2_EviT2_lT3_lT_lT4_lS8_li.has_dyn_sized_stack, 0
	.set _ZL19rocblas_axpy_kernelIiLi256EfPKfPK16rocblas_bfloat16PS2_EviT2_lT3_lT_lT4_lS8_li.has_recursion, 0
	.set _ZL19rocblas_axpy_kernelIiLi256EfPKfPK16rocblas_bfloat16PS2_EviT2_lT3_lT_lT4_lS8_li.has_indirect_call, 0
	.section	.AMDGPU.csdata,"",@progbits
; Kernel info:
; codeLenInByte = 656
; TotalNumSgprs: 28
; NumVgprs: 10
; ScratchSize: 0
; MemoryBound: 0
; FloatMode: 240
; IeeeMode: 1
; LDSByteSize: 0 bytes/workgroup (compile time only)
; SGPRBlocks: 0
; VGPRBlocks: 0
; NumSGPRsForWavesPerEU: 28
; NumVGPRsForWavesPerEU: 10
; NamedBarCnt: 0
; Occupancy: 16
; WaveLimiterHint : 0
; COMPUTE_PGM_RSRC2:SCRATCH_EN: 0
; COMPUTE_PGM_RSRC2:USER_SGPR: 2
; COMPUTE_PGM_RSRC2:TRAP_HANDLER: 0
; COMPUTE_PGM_RSRC2:TGID_X_EN: 1
; COMPUTE_PGM_RSRC2:TGID_Y_EN: 0
; COMPUTE_PGM_RSRC2:TGID_Z_EN: 1
; COMPUTE_PGM_RSRC2:TIDIG_COMP_CNT: 0
	.section	.text._ZL19rocblas_axpy_kernelIiLi256EffPK16rocblas_bfloat16PS0_EviT2_lT3_lT_lT4_lS6_li,"axG",@progbits,_ZL19rocblas_axpy_kernelIiLi256EffPK16rocblas_bfloat16PS0_EviT2_lT3_lT_lT4_lS6_li,comdat
	.globl	_ZL19rocblas_axpy_kernelIiLi256EffPK16rocblas_bfloat16PS0_EviT2_lT3_lT_lT4_lS6_li ; -- Begin function _ZL19rocblas_axpy_kernelIiLi256EffPK16rocblas_bfloat16PS0_EviT2_lT3_lT_lT4_lS6_li
	.p2align	8
	.type	_ZL19rocblas_axpy_kernelIiLi256EffPK16rocblas_bfloat16PS0_EviT2_lT3_lT_lT4_lS6_li,@function
_ZL19rocblas_axpy_kernelIiLi256EffPK16rocblas_bfloat16PS0_EviT2_lT3_lT_lT4_lS6_li: ; @_ZL19rocblas_axpy_kernelIiLi256EffPK16rocblas_bfloat16PS0_EviT2_lT3_lT_lT4_lS6_li
; %bb.0:
	s_load_b32 s10, s[0:1], 0x50
	s_bfe_u32 s2, ttmp6, 0x40014
	s_lshr_b32 s3, ttmp7, 16
	s_add_co_i32 s2, s2, 1
	s_bfe_u32 s5, ttmp6, 0x40008
	s_mul_i32 s4, s3, s2
	s_getreg_b32 s2, hwreg(HW_REG_IB_STS2, 6, 4)
	s_add_co_i32 s5, s5, s4
	s_cmp_eq_u32 s2, 0
	s_cselect_b32 s4, s3, s5
	s_mov_b32 s5, 0
	s_wait_kmcnt 0x0
	s_cmp_ge_u32 s4, s10
	s_cbranch_scc1 .LBB139_13
; %bb.1:
	s_clause 0x2
	s_load_b32 s20, s[0:1], 0x20
	s_load_b96 s[16:18], s[0:1], 0x38
	s_load_b128 s[12:15], s[0:1], 0x10
	s_bfe_u32 s3, ttmp6, 0x4000c
	s_and_b32 s11, ttmp6, 15
	s_add_co_i32 s3, s3, 1
	v_mov_b32_e32 v1, 0
	s_mul_i32 s3, ttmp9, s3
	s_clause 0x1
	s_load_b64 s[6:7], s[0:1], 0x0
	s_load_b64 s[8:9], s[0:1], 0x48
	s_add_co_i32 s11, s11, s3
	s_wait_kmcnt 0x0
	s_ashr_i32 s21, s20, 31
	s_ashr_i32 s3, s18, 31
	s_lshl_b64 s[16:17], s[16:17], 1
	s_lshl_b64 s[14:15], s[14:15], 1
	s_cmp_eq_u32 s2, 0
	s_add_nc_u64 s[12:13], s[12:13], s[14:15]
	s_cselect_b32 s2, ttmp9, s11
	s_delay_alu instid0(SALU_CYCLE_1) | instskip(SKIP_3) | instid1(VALU_DEP_1)
	v_lshl_or_b32 v0, s2, 8, v0
	s_mov_b32 s2, s18
	s_cmp_neq_f32 s7, 0
	s_mov_b32 s18, s6
	v_mul_u64_e32 v[2:3], s[20:21], v[0:1]
	v_mul_u64_e32 v[4:5], s[2:3], v[0:1]
	s_load_b128 s[0:3], s[0:1], 0x28
	s_cselect_b32 s11, -1, 0
	s_ashr_i32 s19, s6, 31
	s_delay_alu instid0(SALU_CYCLE_1) | instskip(SKIP_2) | instid1(VALU_DEP_3)
	v_cmp_gt_i64_e32 vcc_lo, s[18:19], v[0:1]
	s_wait_kmcnt 0x0
	s_add_nc_u64 s[2:3], s[2:3], s[16:17]
	v_lshl_add_u64 v[0:1], v[2:3], 1, s[12:13]
	s_delay_alu instid0(VALU_DEP_3)
	v_lshl_add_u64 v[2:3], v[4:5], 1, s[2:3]
	s_and_b32 s2, s11, vcc_lo
	s_branch .LBB139_4
.LBB139_2:                              ;   in Loop: Header=BB139_4 Depth=1
	s_or_b32 exec_lo, exec_lo, s6
	global_store_d16_hi_b16 v[4:5], v7, off
.LBB139_3:                              ;   in Loop: Header=BB139_4 Depth=1
	s_wait_xcnt 0x0
	s_or_b32 exec_lo, exec_lo, s3
	s_add_co_i32 s4, s4, 0x10000
	s_delay_alu instid0(SALU_CYCLE_1)
	s_cmp_lt_u32 s4, s10
	s_cbranch_scc0 .LBB139_13
.LBB139_4:                              ; =>This Inner Loop Header: Depth=1
	s_and_saveexec_b32 s3, s2
	s_cbranch_execz .LBB139_3
; %bb.5:                                ;   in Loop: Header=BB139_4 Depth=1
	s_mul_u64 s[12:13], s[0:1], s[4:5]
	s_delay_alu instid0(SALU_CYCLE_1)
	v_lshl_add_u64 v[4:5], s[12:13], 1, v[0:1]
	s_mul_u64 s[12:13], s[8:9], s[4:5]
	global_load_u16 v7, v[4:5], off
	s_wait_xcnt 0x0
	v_lshl_add_u64 v[4:5], s[12:13], 1, v[2:3]
	global_load_u16 v6, v[4:5], off
	s_wait_loadcnt 0x1
	v_lshlrev_b32_e32 v7, 16, v7
	s_delay_alu instid0(VALU_DEP_1) | instskip(NEXT) | instid1(VALU_DEP_1)
	v_mul_f32_e32 v7, s7, v7
	v_and_b32_e32 v8, 0x7f800000, v7
	s_delay_alu instid0(VALU_DEP_1) | instskip(SKIP_2) | instid1(SALU_CYCLE_1)
	v_cmp_ne_u32_e32 vcc_lo, 0x7f800000, v8
                                        ; implicit-def: $vgpr8
	s_wait_xcnt 0x0
	s_and_saveexec_b32 s6, vcc_lo
	s_xor_b32 s6, exec_lo, s6
; %bb.6:                                ;   in Loop: Header=BB139_4 Depth=1
	v_bfe_u32 v8, v7, 16, 1
	s_delay_alu instid0(VALU_DEP_1)
	v_add3_u32 v8, v7, v8, 0x7fff
                                        ; implicit-def: $vgpr7
; %bb.7:                                ;   in Loop: Header=BB139_4 Depth=1
	s_and_not1_saveexec_b32 s6, s6
; %bb.8:                                ;   in Loop: Header=BB139_4 Depth=1
	v_and_b32_e32 v8, 0xffff, v7
	v_or_b32_e32 v9, 0x10000, v7
	s_delay_alu instid0(VALU_DEP_2) | instskip(NEXT) | instid1(VALU_DEP_2)
	v_cmp_eq_u32_e32 vcc_lo, 0, v8
	v_cndmask_b32_e32 v8, v9, v7, vcc_lo
; %bb.9:                                ;   in Loop: Header=BB139_4 Depth=1
	s_or_b32 exec_lo, exec_lo, s6
	s_delay_alu instid0(VALU_DEP_1) | instskip(SKIP_2) | instid1(VALU_DEP_1)
	v_and_b32_e32 v7, 0xffff0000, v8
	s_wait_loadcnt 0x0
	v_lshlrev_b32_e32 v6, 16, v6
	v_add_f32_e32 v6, v6, v7
	s_delay_alu instid0(VALU_DEP_1) | instskip(NEXT) | instid1(VALU_DEP_1)
	v_and_b32_e32 v7, 0x7f800000, v6
	v_cmp_ne_u32_e32 vcc_lo, 0x7f800000, v7
                                        ; implicit-def: $vgpr7
	s_and_saveexec_b32 s6, vcc_lo
	s_delay_alu instid0(SALU_CYCLE_1)
	s_xor_b32 s6, exec_lo, s6
; %bb.10:                               ;   in Loop: Header=BB139_4 Depth=1
	v_bfe_u32 v7, v6, 16, 1
	s_delay_alu instid0(VALU_DEP_1)
	v_add3_u32 v7, v6, v7, 0x7fff
                                        ; implicit-def: $vgpr6
; %bb.11:                               ;   in Loop: Header=BB139_4 Depth=1
	s_and_not1_saveexec_b32 s6, s6
	s_cbranch_execz .LBB139_2
; %bb.12:                               ;   in Loop: Header=BB139_4 Depth=1
	v_and_b32_e32 v7, 0xffff, v6
	v_or_b32_e32 v8, 0x10000, v6
	s_delay_alu instid0(VALU_DEP_2) | instskip(NEXT) | instid1(VALU_DEP_2)
	v_cmp_eq_u32_e32 vcc_lo, 0, v7
	v_cndmask_b32_e32 v7, v8, v6, vcc_lo
	s_branch .LBB139_2
.LBB139_13:
	s_endpgm
	.section	.rodata,"a",@progbits
	.p2align	6, 0x0
	.amdhsa_kernel _ZL19rocblas_axpy_kernelIiLi256EffPK16rocblas_bfloat16PS0_EviT2_lT3_lT_lT4_lS6_li
		.amdhsa_group_segment_fixed_size 0
		.amdhsa_private_segment_fixed_size 0
		.amdhsa_kernarg_size 84
		.amdhsa_user_sgpr_count 2
		.amdhsa_user_sgpr_dispatch_ptr 0
		.amdhsa_user_sgpr_queue_ptr 0
		.amdhsa_user_sgpr_kernarg_segment_ptr 1
		.amdhsa_user_sgpr_dispatch_id 0
		.amdhsa_user_sgpr_kernarg_preload_length 0
		.amdhsa_user_sgpr_kernarg_preload_offset 0
		.amdhsa_user_sgpr_private_segment_size 0
		.amdhsa_wavefront_size32 1
		.amdhsa_uses_dynamic_stack 0
		.amdhsa_enable_private_segment 0
		.amdhsa_system_sgpr_workgroup_id_x 1
		.amdhsa_system_sgpr_workgroup_id_y 0
		.amdhsa_system_sgpr_workgroup_id_z 1
		.amdhsa_system_sgpr_workgroup_info 0
		.amdhsa_system_vgpr_workitem_id 0
		.amdhsa_next_free_vgpr 10
		.amdhsa_next_free_sgpr 22
		.amdhsa_named_barrier_count 0
		.amdhsa_reserve_vcc 1
		.amdhsa_float_round_mode_32 0
		.amdhsa_float_round_mode_16_64 0
		.amdhsa_float_denorm_mode_32 3
		.amdhsa_float_denorm_mode_16_64 3
		.amdhsa_fp16_overflow 0
		.amdhsa_memory_ordered 1
		.amdhsa_forward_progress 1
		.amdhsa_inst_pref_size 5
		.amdhsa_round_robin_scheduling 0
		.amdhsa_exception_fp_ieee_invalid_op 0
		.amdhsa_exception_fp_denorm_src 0
		.amdhsa_exception_fp_ieee_div_zero 0
		.amdhsa_exception_fp_ieee_overflow 0
		.amdhsa_exception_fp_ieee_underflow 0
		.amdhsa_exception_fp_ieee_inexact 0
		.amdhsa_exception_int_div_zero 0
	.end_amdhsa_kernel
	.section	.text._ZL19rocblas_axpy_kernelIiLi256EffPK16rocblas_bfloat16PS0_EviT2_lT3_lT_lT4_lS6_li,"axG",@progbits,_ZL19rocblas_axpy_kernelIiLi256EffPK16rocblas_bfloat16PS0_EviT2_lT3_lT_lT4_lS6_li,comdat
.Lfunc_end139:
	.size	_ZL19rocblas_axpy_kernelIiLi256EffPK16rocblas_bfloat16PS0_EviT2_lT3_lT_lT4_lS6_li, .Lfunc_end139-_ZL19rocblas_axpy_kernelIiLi256EffPK16rocblas_bfloat16PS0_EviT2_lT3_lT_lT4_lS6_li
                                        ; -- End function
	.set _ZL19rocblas_axpy_kernelIiLi256EffPK16rocblas_bfloat16PS0_EviT2_lT3_lT_lT4_lS6_li.num_vgpr, 10
	.set _ZL19rocblas_axpy_kernelIiLi256EffPK16rocblas_bfloat16PS0_EviT2_lT3_lT_lT4_lS6_li.num_agpr, 0
	.set _ZL19rocblas_axpy_kernelIiLi256EffPK16rocblas_bfloat16PS0_EviT2_lT3_lT_lT4_lS6_li.numbered_sgpr, 22
	.set _ZL19rocblas_axpy_kernelIiLi256EffPK16rocblas_bfloat16PS0_EviT2_lT3_lT_lT4_lS6_li.num_named_barrier, 0
	.set _ZL19rocblas_axpy_kernelIiLi256EffPK16rocblas_bfloat16PS0_EviT2_lT3_lT_lT4_lS6_li.private_seg_size, 0
	.set _ZL19rocblas_axpy_kernelIiLi256EffPK16rocblas_bfloat16PS0_EviT2_lT3_lT_lT4_lS6_li.uses_vcc, 1
	.set _ZL19rocblas_axpy_kernelIiLi256EffPK16rocblas_bfloat16PS0_EviT2_lT3_lT_lT4_lS6_li.uses_flat_scratch, 0
	.set _ZL19rocblas_axpy_kernelIiLi256EffPK16rocblas_bfloat16PS0_EviT2_lT3_lT_lT4_lS6_li.has_dyn_sized_stack, 0
	.set _ZL19rocblas_axpy_kernelIiLi256EffPK16rocblas_bfloat16PS0_EviT2_lT3_lT_lT4_lS6_li.has_recursion, 0
	.set _ZL19rocblas_axpy_kernelIiLi256EffPK16rocblas_bfloat16PS0_EviT2_lT3_lT_lT4_lS6_li.has_indirect_call, 0
	.section	.AMDGPU.csdata,"",@progbits
; Kernel info:
; codeLenInByte = 608
; TotalNumSgprs: 24
; NumVgprs: 10
; ScratchSize: 0
; MemoryBound: 0
; FloatMode: 240
; IeeeMode: 1
; LDSByteSize: 0 bytes/workgroup (compile time only)
; SGPRBlocks: 0
; VGPRBlocks: 0
; NumSGPRsForWavesPerEU: 24
; NumVGPRsForWavesPerEU: 10
; NamedBarCnt: 0
; Occupancy: 16
; WaveLimiterHint : 0
; COMPUTE_PGM_RSRC2:SCRATCH_EN: 0
; COMPUTE_PGM_RSRC2:USER_SGPR: 2
; COMPUTE_PGM_RSRC2:TRAP_HANDLER: 0
; COMPUTE_PGM_RSRC2:TGID_X_EN: 1
; COMPUTE_PGM_RSRC2:TGID_Y_EN: 0
; COMPUTE_PGM_RSRC2:TGID_Z_EN: 1
; COMPUTE_PGM_RSRC2:TIDIG_COMP_CNT: 0
	.section	.text._ZL19rocblas_axpy_kernelIlLi256EfPKfPK16rocblas_bfloat16PS2_EviT2_lT3_lT_lT4_lS8_li,"axG",@progbits,_ZL19rocblas_axpy_kernelIlLi256EfPKfPK16rocblas_bfloat16PS2_EviT2_lT3_lT_lT4_lS8_li,comdat
	.globl	_ZL19rocblas_axpy_kernelIlLi256EfPKfPK16rocblas_bfloat16PS2_EviT2_lT3_lT_lT4_lS8_li ; -- Begin function _ZL19rocblas_axpy_kernelIlLi256EfPKfPK16rocblas_bfloat16PS2_EviT2_lT3_lT_lT4_lS8_li
	.p2align	8
	.type	_ZL19rocblas_axpy_kernelIlLi256EfPKfPK16rocblas_bfloat16PS2_EviT2_lT3_lT_lT4_lS8_li,@function
_ZL19rocblas_axpy_kernelIlLi256EfPKfPK16rocblas_bfloat16PS2_EviT2_lT3_lT_lT4_lS8_li: ; @_ZL19rocblas_axpy_kernelIlLi256EfPKfPK16rocblas_bfloat16PS2_EviT2_lT3_lT_lT4_lS8_li
; %bb.0:
	s_load_b32 s16, s[0:1], 0x58
	s_bfe_u32 s2, ttmp6, 0x40014
	s_lshr_b32 s3, ttmp7, 16
	s_add_co_i32 s2, s2, 1
	s_bfe_u32 s4, ttmp6, 0x40008
	s_mul_i32 s2, s3, s2
	s_getreg_b32 s17, hwreg(HW_REG_IB_STS2, 6, 4)
	s_add_co_i32 s4, s4, s2
	s_cmp_eq_u32 s17, 0
	s_cselect_b32 s2, s3, s4
	s_mov_b32 s3, 0
	s_wait_kmcnt 0x0
	s_cmp_ge_u32 s2, s16
	s_cbranch_scc1 .LBB140_13
; %bb.1:
	s_clause 0x2
	s_load_b32 s18, s[0:1], 0x0
	s_load_b256 s[4:11], s[0:1], 0x30
	s_load_b128 s[20:23], s[0:1], 0x20
	s_bfe_u32 s12, ttmp6, 0x4000c
	s_and_b32 s19, ttmp6, 15
	s_add_co_i32 s12, s12, 1
	v_mov_b32_e32 v1, 0
	s_mul_i32 s24, ttmp9, s12
	s_load_b128 s[12:15], s[0:1], 0x8
	s_add_co_i32 s26, s19, s24
	s_wait_kmcnt 0x0
	s_ashr_i32 s19, s18, 31
	s_lshl_b64 s[24:25], s[8:9], 1
	s_lshl_b64 s[20:21], s[20:21], 1
	s_cmp_eq_u32 s17, 0
	s_cselect_b32 s8, ttmp9, s26
	s_delay_alu instid0(SALU_CYCLE_1) | instskip(NEXT) | instid1(VALU_DEP_1)
	v_lshl_or_b32 v0, s8, 8, v0
	v_mul_u64_e32 v[2:3], s[22:23], v[0:1]
	v_mul_u64_e32 v[4:5], s[10:11], v[0:1]
	s_clause 0x1
	s_load_b64 s[10:11], s[0:1], 0x18
	s_load_b64 s[8:9], s[0:1], 0x50
	s_wait_xcnt 0x0
	s_add_nc_u64 s[0:1], s[6:7], s[24:25]
	v_cmp_gt_i64_e32 vcc_lo, s[18:19], v[0:1]
	s_wait_kmcnt 0x0
	s_add_nc_u64 s[6:7], s[10:11], s[20:21]
	s_delay_alu instid0(VALU_DEP_3) | instid1(SALU_CYCLE_1)
	v_lshl_add_u64 v[0:1], v[2:3], 1, s[6:7]
	s_delay_alu instid0(VALU_DEP_3)
	v_lshl_add_u64 v[2:3], v[4:5], 1, s[0:1]
	s_branch .LBB140_4
.LBB140_2:                              ;   in Loop: Header=BB140_4 Depth=1
	s_or_b32 exec_lo, exec_lo, s6
	global_store_d16_hi_b16 v[4:5], v7, off
.LBB140_3:                              ;   in Loop: Header=BB140_4 Depth=1
	s_wait_xcnt 0x0
	s_or_b32 exec_lo, exec_lo, s1
	s_add_co_i32 s2, s2, 0x10000
	s_delay_alu instid0(SALU_CYCLE_1)
	s_cmp_lt_u32 s2, s16
	s_cbranch_scc0 .LBB140_13
.LBB140_4:                              ; =>This Inner Loop Header: Depth=1
	s_mul_u64 s[0:1], s[14:15], s[2:3]
	s_delay_alu instid0(SALU_CYCLE_1) | instskip(NEXT) | instid1(SALU_CYCLE_1)
	s_lshl_b64 s[0:1], s[0:1], 2
	s_add_nc_u64 s[0:1], s[12:13], s[0:1]
	s_load_b32 s0, s[0:1], 0x0
	s_wait_kmcnt 0x0
	s_cmp_neq_f32 s0, 0
	s_wait_xcnt 0x0
	s_cselect_b32 s1, -1, 0
	s_delay_alu instid0(SALU_CYCLE_1) | instskip(NEXT) | instid1(SALU_CYCLE_1)
	s_and_b32 s6, vcc_lo, s1
	s_and_saveexec_b32 s1, s6
	s_cbranch_execz .LBB140_3
; %bb.5:                                ;   in Loop: Header=BB140_4 Depth=1
	s_mul_u64 s[6:7], s[4:5], s[2:3]
	s_delay_alu instid0(SALU_CYCLE_1)
	v_lshl_add_u64 v[4:5], s[6:7], 1, v[0:1]
	s_mul_u64 s[6:7], s[8:9], s[2:3]
	global_load_u16 v7, v[4:5], off
	s_wait_xcnt 0x0
	v_lshl_add_u64 v[4:5], s[6:7], 1, v[2:3]
	global_load_u16 v6, v[4:5], off
	s_wait_loadcnt 0x1
	v_lshlrev_b32_e32 v7, 16, v7
	s_delay_alu instid0(VALU_DEP_1) | instskip(NEXT) | instid1(VALU_DEP_1)
	v_mul_f32_e32 v7, s0, v7
	v_and_b32_e32 v8, 0x7f800000, v7
	s_delay_alu instid0(VALU_DEP_1) | instskip(SKIP_2) | instid1(SALU_CYCLE_1)
	v_cmp_ne_u32_e64 s0, 0x7f800000, v8
                                        ; implicit-def: $vgpr8
	s_wait_xcnt 0x0
	s_and_saveexec_b32 s6, s0
	s_xor_b32 s0, exec_lo, s6
; %bb.6:                                ;   in Loop: Header=BB140_4 Depth=1
	v_bfe_u32 v8, v7, 16, 1
	s_delay_alu instid0(VALU_DEP_1)
	v_add3_u32 v8, v7, v8, 0x7fff
                                        ; implicit-def: $vgpr7
; %bb.7:                                ;   in Loop: Header=BB140_4 Depth=1
	s_and_not1_saveexec_b32 s6, s0
; %bb.8:                                ;   in Loop: Header=BB140_4 Depth=1
	v_and_b32_e32 v8, 0xffff, v7
	v_or_b32_e32 v9, 0x10000, v7
	s_delay_alu instid0(VALU_DEP_2) | instskip(NEXT) | instid1(VALU_DEP_1)
	v_cmp_eq_u32_e64 s0, 0, v8
	v_cndmask_b32_e64 v8, v9, v7, s0
; %bb.9:                                ;   in Loop: Header=BB140_4 Depth=1
	s_or_b32 exec_lo, exec_lo, s6
	s_delay_alu instid0(VALU_DEP_1) | instskip(SKIP_2) | instid1(VALU_DEP_1)
	v_and_b32_e32 v7, 0xffff0000, v8
	s_wait_loadcnt 0x0
	v_lshlrev_b32_e32 v6, 16, v6
	v_add_f32_e32 v6, v6, v7
	s_delay_alu instid0(VALU_DEP_1) | instskip(NEXT) | instid1(VALU_DEP_1)
	v_and_b32_e32 v7, 0x7f800000, v6
	v_cmp_ne_u32_e64 s0, 0x7f800000, v7
                                        ; implicit-def: $vgpr7
	s_and_saveexec_b32 s6, s0
	s_delay_alu instid0(SALU_CYCLE_1)
	s_xor_b32 s0, exec_lo, s6
; %bb.10:                               ;   in Loop: Header=BB140_4 Depth=1
	v_bfe_u32 v7, v6, 16, 1
	s_delay_alu instid0(VALU_DEP_1)
	v_add3_u32 v7, v6, v7, 0x7fff
                                        ; implicit-def: $vgpr6
; %bb.11:                               ;   in Loop: Header=BB140_4 Depth=1
	s_and_not1_saveexec_b32 s6, s0
	s_cbranch_execz .LBB140_2
; %bb.12:                               ;   in Loop: Header=BB140_4 Depth=1
	v_and_b32_e32 v7, 0xffff, v6
	v_or_b32_e32 v8, 0x10000, v6
	s_delay_alu instid0(VALU_DEP_2) | instskip(NEXT) | instid1(VALU_DEP_1)
	v_cmp_eq_u32_e64 s0, 0, v7
	v_cndmask_b32_e64 v7, v8, v6, s0
	s_branch .LBB140_2
.LBB140_13:
	s_endpgm
	.section	.rodata,"a",@progbits
	.p2align	6, 0x0
	.amdhsa_kernel _ZL19rocblas_axpy_kernelIlLi256EfPKfPK16rocblas_bfloat16PS2_EviT2_lT3_lT_lT4_lS8_li
		.amdhsa_group_segment_fixed_size 0
		.amdhsa_private_segment_fixed_size 0
		.amdhsa_kernarg_size 92
		.amdhsa_user_sgpr_count 2
		.amdhsa_user_sgpr_dispatch_ptr 0
		.amdhsa_user_sgpr_queue_ptr 0
		.amdhsa_user_sgpr_kernarg_segment_ptr 1
		.amdhsa_user_sgpr_dispatch_id 0
		.amdhsa_user_sgpr_kernarg_preload_length 0
		.amdhsa_user_sgpr_kernarg_preload_offset 0
		.amdhsa_user_sgpr_private_segment_size 0
		.amdhsa_wavefront_size32 1
		.amdhsa_uses_dynamic_stack 0
		.amdhsa_enable_private_segment 0
		.amdhsa_system_sgpr_workgroup_id_x 1
		.amdhsa_system_sgpr_workgroup_id_y 0
		.amdhsa_system_sgpr_workgroup_id_z 1
		.amdhsa_system_sgpr_workgroup_info 0
		.amdhsa_system_vgpr_workitem_id 0
		.amdhsa_next_free_vgpr 10
		.amdhsa_next_free_sgpr 27
		.amdhsa_named_barrier_count 0
		.amdhsa_reserve_vcc 1
		.amdhsa_float_round_mode_32 0
		.amdhsa_float_round_mode_16_64 0
		.amdhsa_float_denorm_mode_32 3
		.amdhsa_float_denorm_mode_16_64 3
		.amdhsa_fp16_overflow 0
		.amdhsa_memory_ordered 1
		.amdhsa_forward_progress 1
		.amdhsa_inst_pref_size 6
		.amdhsa_round_robin_scheduling 0
		.amdhsa_exception_fp_ieee_invalid_op 0
		.amdhsa_exception_fp_denorm_src 0
		.amdhsa_exception_fp_ieee_div_zero 0
		.amdhsa_exception_fp_ieee_overflow 0
		.amdhsa_exception_fp_ieee_underflow 0
		.amdhsa_exception_fp_ieee_inexact 0
		.amdhsa_exception_int_div_zero 0
	.end_amdhsa_kernel
	.section	.text._ZL19rocblas_axpy_kernelIlLi256EfPKfPK16rocblas_bfloat16PS2_EviT2_lT3_lT_lT4_lS8_li,"axG",@progbits,_ZL19rocblas_axpy_kernelIlLi256EfPKfPK16rocblas_bfloat16PS2_EviT2_lT3_lT_lT4_lS8_li,comdat
.Lfunc_end140:
	.size	_ZL19rocblas_axpy_kernelIlLi256EfPKfPK16rocblas_bfloat16PS2_EviT2_lT3_lT_lT4_lS8_li, .Lfunc_end140-_ZL19rocblas_axpy_kernelIlLi256EfPKfPK16rocblas_bfloat16PS2_EviT2_lT3_lT_lT4_lS8_li
                                        ; -- End function
	.set _ZL19rocblas_axpy_kernelIlLi256EfPKfPK16rocblas_bfloat16PS2_EviT2_lT3_lT_lT4_lS8_li.num_vgpr, 10
	.set _ZL19rocblas_axpy_kernelIlLi256EfPKfPK16rocblas_bfloat16PS2_EviT2_lT3_lT_lT4_lS8_li.num_agpr, 0
	.set _ZL19rocblas_axpy_kernelIlLi256EfPKfPK16rocblas_bfloat16PS2_EviT2_lT3_lT_lT4_lS8_li.numbered_sgpr, 27
	.set _ZL19rocblas_axpy_kernelIlLi256EfPKfPK16rocblas_bfloat16PS2_EviT2_lT3_lT_lT4_lS8_li.num_named_barrier, 0
	.set _ZL19rocblas_axpy_kernelIlLi256EfPKfPK16rocblas_bfloat16PS2_EviT2_lT3_lT_lT4_lS8_li.private_seg_size, 0
	.set _ZL19rocblas_axpy_kernelIlLi256EfPKfPK16rocblas_bfloat16PS2_EviT2_lT3_lT_lT4_lS8_li.uses_vcc, 1
	.set _ZL19rocblas_axpy_kernelIlLi256EfPKfPK16rocblas_bfloat16PS2_EviT2_lT3_lT_lT4_lS8_li.uses_flat_scratch, 0
	.set _ZL19rocblas_axpy_kernelIlLi256EfPKfPK16rocblas_bfloat16PS2_EviT2_lT3_lT_lT4_lS8_li.has_dyn_sized_stack, 0
	.set _ZL19rocblas_axpy_kernelIlLi256EfPKfPK16rocblas_bfloat16PS2_EviT2_lT3_lT_lT4_lS8_li.has_recursion, 0
	.set _ZL19rocblas_axpy_kernelIlLi256EfPKfPK16rocblas_bfloat16PS2_EviT2_lT3_lT_lT4_lS8_li.has_indirect_call, 0
	.section	.AMDGPU.csdata,"",@progbits
; Kernel info:
; codeLenInByte = 656
; TotalNumSgprs: 29
; NumVgprs: 10
; ScratchSize: 0
; MemoryBound: 0
; FloatMode: 240
; IeeeMode: 1
; LDSByteSize: 0 bytes/workgroup (compile time only)
; SGPRBlocks: 0
; VGPRBlocks: 0
; NumSGPRsForWavesPerEU: 29
; NumVGPRsForWavesPerEU: 10
; NamedBarCnt: 0
; Occupancy: 16
; WaveLimiterHint : 0
; COMPUTE_PGM_RSRC2:SCRATCH_EN: 0
; COMPUTE_PGM_RSRC2:USER_SGPR: 2
; COMPUTE_PGM_RSRC2:TRAP_HANDLER: 0
; COMPUTE_PGM_RSRC2:TGID_X_EN: 1
; COMPUTE_PGM_RSRC2:TGID_Y_EN: 0
; COMPUTE_PGM_RSRC2:TGID_Z_EN: 1
; COMPUTE_PGM_RSRC2:TIDIG_COMP_CNT: 0
	.section	.text._ZL19rocblas_axpy_kernelIlLi256EffPK16rocblas_bfloat16PS0_EviT2_lT3_lT_lT4_lS6_li,"axG",@progbits,_ZL19rocblas_axpy_kernelIlLi256EffPK16rocblas_bfloat16PS0_EviT2_lT3_lT_lT4_lS6_li,comdat
	.globl	_ZL19rocblas_axpy_kernelIlLi256EffPK16rocblas_bfloat16PS0_EviT2_lT3_lT_lT4_lS6_li ; -- Begin function _ZL19rocblas_axpy_kernelIlLi256EffPK16rocblas_bfloat16PS0_EviT2_lT3_lT_lT4_lS6_li
	.p2align	8
	.type	_ZL19rocblas_axpy_kernelIlLi256EffPK16rocblas_bfloat16PS0_EviT2_lT3_lT_lT4_lS6_li,@function
_ZL19rocblas_axpy_kernelIlLi256EffPK16rocblas_bfloat16PS0_EviT2_lT3_lT_lT4_lS6_li: ; @_ZL19rocblas_axpy_kernelIlLi256EffPK16rocblas_bfloat16PS0_EviT2_lT3_lT_lT4_lS6_li
; %bb.0:
	s_load_b32 s12, s[0:1], 0x50
	s_bfe_u32 s2, ttmp6, 0x40014
	s_lshr_b32 s3, ttmp7, 16
	s_add_co_i32 s2, s2, 1
	s_bfe_u32 s4, ttmp6, 0x40008
	s_mul_i32 s2, s3, s2
	s_getreg_b32 s13, hwreg(HW_REG_IB_STS2, 6, 4)
	s_add_co_i32 s4, s4, s2
	s_cmp_eq_u32 s13, 0
	s_cselect_b32 s2, s3, s4
	s_mov_b32 s3, 0
	s_wait_kmcnt 0x0
	s_cmp_ge_u32 s2, s12
	s_cbranch_scc1 .LBB141_13
; %bb.1:
	s_clause 0x1
	s_load_b256 s[4:11], s[0:1], 0x28
	s_load_b128 s[16:19], s[0:1], 0x18
	s_bfe_u32 s14, ttmp6, 0x4000c
	s_and_b32 s15, ttmp6, 15
	s_add_co_i32 s14, s14, 1
	v_mov_b32_e32 v1, 0
	s_mul_i32 s14, ttmp9, s14
	s_delay_alu instid0(SALU_CYCLE_1)
	s_add_co_i32 s20, s15, s14
	s_wait_kmcnt 0x0
	s_lshl_b64 s[14:15], s[8:9], 1
	s_lshl_b64 s[16:17], s[16:17], 1
	s_cmp_eq_u32 s13, 0
	s_add_nc_u64 s[6:7], s[6:7], s[14:15]
	s_cselect_b32 s8, ttmp9, s20
	s_delay_alu instid0(SALU_CYCLE_1) | instskip(NEXT) | instid1(VALU_DEP_1)
	v_lshl_or_b32 v0, s8, 8, v0
	v_mul_u64_e32 v[2:3], s[18:19], v[0:1]
	v_mul_u64_e32 v[4:5], s[10:11], v[0:1]
	s_clause 0x2
	s_load_b64 s[8:9], s[0:1], 0x0
	s_load_b64 s[18:19], s[0:1], 0x10
	;; [unrolled: 1-line block ×3, first 2 shown]
	s_wait_kmcnt 0x0
	s_cmp_neq_f32 s9, 0
	s_mov_b32 s0, s8
	s_cselect_b32 s13, -1, 0
	s_ashr_i32 s1, s8, 31
	s_delay_alu instid0(SALU_CYCLE_1)
	v_cmp_gt_i64_e32 vcc_lo, s[0:1], v[0:1]
	s_add_nc_u64 s[0:1], s[18:19], s[16:17]
	s_delay_alu instid0(VALU_DEP_3) | instid1(SALU_CYCLE_1)
	v_lshl_add_u64 v[0:1], v[2:3], 1, s[0:1]
	s_delay_alu instid0(VALU_DEP_3)
	v_lshl_add_u64 v[2:3], v[4:5], 1, s[6:7]
	s_and_b32 s0, s13, vcc_lo
	s_branch .LBB141_4
.LBB141_2:                              ;   in Loop: Header=BB141_4 Depth=1
	s_or_b32 exec_lo, exec_lo, s6
	global_store_d16_hi_b16 v[4:5], v7, off
.LBB141_3:                              ;   in Loop: Header=BB141_4 Depth=1
	s_wait_xcnt 0x0
	s_or_b32 exec_lo, exec_lo, s1
	s_add_co_i32 s2, s2, 0x10000
	s_delay_alu instid0(SALU_CYCLE_1)
	s_cmp_lt_u32 s2, s12
	s_cbranch_scc0 .LBB141_13
.LBB141_4:                              ; =>This Inner Loop Header: Depth=1
	s_and_saveexec_b32 s1, s0
	s_cbranch_execz .LBB141_3
; %bb.5:                                ;   in Loop: Header=BB141_4 Depth=1
	s_mul_u64 s[6:7], s[4:5], s[2:3]
	s_delay_alu instid0(SALU_CYCLE_1)
	v_lshl_add_u64 v[4:5], s[6:7], 1, v[0:1]
	s_mul_u64 s[6:7], s[10:11], s[2:3]
	global_load_u16 v7, v[4:5], off
	s_wait_xcnt 0x0
	v_lshl_add_u64 v[4:5], s[6:7], 1, v[2:3]
	global_load_u16 v6, v[4:5], off
	s_wait_loadcnt 0x1
	v_lshlrev_b32_e32 v7, 16, v7
	s_delay_alu instid0(VALU_DEP_1) | instskip(NEXT) | instid1(VALU_DEP_1)
	v_mul_f32_e32 v7, s9, v7
	v_and_b32_e32 v8, 0x7f800000, v7
	s_delay_alu instid0(VALU_DEP_1) | instskip(SKIP_2) | instid1(SALU_CYCLE_1)
	v_cmp_ne_u32_e32 vcc_lo, 0x7f800000, v8
                                        ; implicit-def: $vgpr8
	s_wait_xcnt 0x0
	s_and_saveexec_b32 s6, vcc_lo
	s_xor_b32 s6, exec_lo, s6
; %bb.6:                                ;   in Loop: Header=BB141_4 Depth=1
	v_bfe_u32 v8, v7, 16, 1
	s_delay_alu instid0(VALU_DEP_1)
	v_add3_u32 v8, v7, v8, 0x7fff
                                        ; implicit-def: $vgpr7
; %bb.7:                                ;   in Loop: Header=BB141_4 Depth=1
	s_and_not1_saveexec_b32 s6, s6
; %bb.8:                                ;   in Loop: Header=BB141_4 Depth=1
	v_and_b32_e32 v8, 0xffff, v7
	v_or_b32_e32 v9, 0x10000, v7
	s_delay_alu instid0(VALU_DEP_2) | instskip(NEXT) | instid1(VALU_DEP_2)
	v_cmp_eq_u32_e32 vcc_lo, 0, v8
	v_cndmask_b32_e32 v8, v9, v7, vcc_lo
; %bb.9:                                ;   in Loop: Header=BB141_4 Depth=1
	s_or_b32 exec_lo, exec_lo, s6
	s_delay_alu instid0(VALU_DEP_1) | instskip(SKIP_2) | instid1(VALU_DEP_1)
	v_and_b32_e32 v7, 0xffff0000, v8
	s_wait_loadcnt 0x0
	v_lshlrev_b32_e32 v6, 16, v6
	v_add_f32_e32 v6, v6, v7
	s_delay_alu instid0(VALU_DEP_1) | instskip(NEXT) | instid1(VALU_DEP_1)
	v_and_b32_e32 v7, 0x7f800000, v6
	v_cmp_ne_u32_e32 vcc_lo, 0x7f800000, v7
                                        ; implicit-def: $vgpr7
	s_and_saveexec_b32 s6, vcc_lo
	s_delay_alu instid0(SALU_CYCLE_1)
	s_xor_b32 s6, exec_lo, s6
; %bb.10:                               ;   in Loop: Header=BB141_4 Depth=1
	v_bfe_u32 v7, v6, 16, 1
	s_delay_alu instid0(VALU_DEP_1)
	v_add3_u32 v7, v6, v7, 0x7fff
                                        ; implicit-def: $vgpr6
; %bb.11:                               ;   in Loop: Header=BB141_4 Depth=1
	s_and_not1_saveexec_b32 s6, s6
	s_cbranch_execz .LBB141_2
; %bb.12:                               ;   in Loop: Header=BB141_4 Depth=1
	v_and_b32_e32 v7, 0xffff, v6
	v_or_b32_e32 v8, 0x10000, v6
	s_delay_alu instid0(VALU_DEP_2) | instskip(NEXT) | instid1(VALU_DEP_2)
	v_cmp_eq_u32_e32 vcc_lo, 0, v7
	v_cndmask_b32_e32 v7, v8, v6, vcc_lo
	s_branch .LBB141_2
.LBB141_13:
	s_endpgm
	.section	.rodata,"a",@progbits
	.p2align	6, 0x0
	.amdhsa_kernel _ZL19rocblas_axpy_kernelIlLi256EffPK16rocblas_bfloat16PS0_EviT2_lT3_lT_lT4_lS6_li
		.amdhsa_group_segment_fixed_size 0
		.amdhsa_private_segment_fixed_size 0
		.amdhsa_kernarg_size 84
		.amdhsa_user_sgpr_count 2
		.amdhsa_user_sgpr_dispatch_ptr 0
		.amdhsa_user_sgpr_queue_ptr 0
		.amdhsa_user_sgpr_kernarg_segment_ptr 1
		.amdhsa_user_sgpr_dispatch_id 0
		.amdhsa_user_sgpr_kernarg_preload_length 0
		.amdhsa_user_sgpr_kernarg_preload_offset 0
		.amdhsa_user_sgpr_private_segment_size 0
		.amdhsa_wavefront_size32 1
		.amdhsa_uses_dynamic_stack 0
		.amdhsa_enable_private_segment 0
		.amdhsa_system_sgpr_workgroup_id_x 1
		.amdhsa_system_sgpr_workgroup_id_y 0
		.amdhsa_system_sgpr_workgroup_id_z 1
		.amdhsa_system_sgpr_workgroup_info 0
		.amdhsa_system_vgpr_workitem_id 0
		.amdhsa_next_free_vgpr 10
		.amdhsa_next_free_sgpr 21
		.amdhsa_named_barrier_count 0
		.amdhsa_reserve_vcc 1
		.amdhsa_float_round_mode_32 0
		.amdhsa_float_round_mode_16_64 0
		.amdhsa_float_denorm_mode_32 3
		.amdhsa_float_denorm_mode_16_64 3
		.amdhsa_fp16_overflow 0
		.amdhsa_memory_ordered 1
		.amdhsa_forward_progress 1
		.amdhsa_inst_pref_size 5
		.amdhsa_round_robin_scheduling 0
		.amdhsa_exception_fp_ieee_invalid_op 0
		.amdhsa_exception_fp_denorm_src 0
		.amdhsa_exception_fp_ieee_div_zero 0
		.amdhsa_exception_fp_ieee_overflow 0
		.amdhsa_exception_fp_ieee_underflow 0
		.amdhsa_exception_fp_ieee_inexact 0
		.amdhsa_exception_int_div_zero 0
	.end_amdhsa_kernel
	.section	.text._ZL19rocblas_axpy_kernelIlLi256EffPK16rocblas_bfloat16PS0_EviT2_lT3_lT_lT4_lS6_li,"axG",@progbits,_ZL19rocblas_axpy_kernelIlLi256EffPK16rocblas_bfloat16PS0_EviT2_lT3_lT_lT4_lS6_li,comdat
.Lfunc_end141:
	.size	_ZL19rocblas_axpy_kernelIlLi256EffPK16rocblas_bfloat16PS0_EviT2_lT3_lT_lT4_lS6_li, .Lfunc_end141-_ZL19rocblas_axpy_kernelIlLi256EffPK16rocblas_bfloat16PS0_EviT2_lT3_lT_lT4_lS6_li
                                        ; -- End function
	.set _ZL19rocblas_axpy_kernelIlLi256EffPK16rocblas_bfloat16PS0_EviT2_lT3_lT_lT4_lS6_li.num_vgpr, 10
	.set _ZL19rocblas_axpy_kernelIlLi256EffPK16rocblas_bfloat16PS0_EviT2_lT3_lT_lT4_lS6_li.num_agpr, 0
	.set _ZL19rocblas_axpy_kernelIlLi256EffPK16rocblas_bfloat16PS0_EviT2_lT3_lT_lT4_lS6_li.numbered_sgpr, 21
	.set _ZL19rocblas_axpy_kernelIlLi256EffPK16rocblas_bfloat16PS0_EviT2_lT3_lT_lT4_lS6_li.num_named_barrier, 0
	.set _ZL19rocblas_axpy_kernelIlLi256EffPK16rocblas_bfloat16PS0_EviT2_lT3_lT_lT4_lS6_li.private_seg_size, 0
	.set _ZL19rocblas_axpy_kernelIlLi256EffPK16rocblas_bfloat16PS0_EviT2_lT3_lT_lT4_lS6_li.uses_vcc, 1
	.set _ZL19rocblas_axpy_kernelIlLi256EffPK16rocblas_bfloat16PS0_EviT2_lT3_lT_lT4_lS6_li.uses_flat_scratch, 0
	.set _ZL19rocblas_axpy_kernelIlLi256EffPK16rocblas_bfloat16PS0_EviT2_lT3_lT_lT4_lS6_li.has_dyn_sized_stack, 0
	.set _ZL19rocblas_axpy_kernelIlLi256EffPK16rocblas_bfloat16PS0_EviT2_lT3_lT_lT4_lS6_li.has_recursion, 0
	.set _ZL19rocblas_axpy_kernelIlLi256EffPK16rocblas_bfloat16PS0_EviT2_lT3_lT_lT4_lS6_li.has_indirect_call, 0
	.section	.AMDGPU.csdata,"",@progbits
; Kernel info:
; codeLenInByte = 596
; TotalNumSgprs: 23
; NumVgprs: 10
; ScratchSize: 0
; MemoryBound: 0
; FloatMode: 240
; IeeeMode: 1
; LDSByteSize: 0 bytes/workgroup (compile time only)
; SGPRBlocks: 0
; VGPRBlocks: 0
; NumSGPRsForWavesPerEU: 23
; NumVGPRsForWavesPerEU: 10
; NamedBarCnt: 0
; Occupancy: 16
; WaveLimiterHint : 0
; COMPUTE_PGM_RSRC2:SCRATCH_EN: 0
; COMPUTE_PGM_RSRC2:USER_SGPR: 2
; COMPUTE_PGM_RSRC2:TRAP_HANDLER: 0
; COMPUTE_PGM_RSRC2:TGID_X_EN: 1
; COMPUTE_PGM_RSRC2:TGID_Y_EN: 0
; COMPUTE_PGM_RSRC2:TGID_Z_EN: 1
; COMPUTE_PGM_RSRC2:TIDIG_COMP_CNT: 0
	.section	.text._ZL22rocblas_saxpy_2_kernelILi256EfPKDF16_S1_PDF16_EviT1_lT2_llT3_lli,"axG",@progbits,_ZL22rocblas_saxpy_2_kernelILi256EfPKDF16_S1_PDF16_EviT1_lT2_llT3_lli,comdat
	.globl	_ZL22rocblas_saxpy_2_kernelILi256EfPKDF16_S1_PDF16_EviT1_lT2_llT3_lli ; -- Begin function _ZL22rocblas_saxpy_2_kernelILi256EfPKDF16_S1_PDF16_EviT1_lT2_llT3_lli
	.p2align	8
	.type	_ZL22rocblas_saxpy_2_kernelILi256EfPKDF16_S1_PDF16_EviT1_lT2_llT3_lli,@function
_ZL22rocblas_saxpy_2_kernelILi256EfPKDF16_S1_PDF16_EviT1_lT2_llT3_lli: ; @_ZL22rocblas_saxpy_2_kernelILi256EfPKDF16_S1_PDF16_EviT1_lT2_llT3_lli
; %bb.0:
	s_load_b32 s16, s[0:1], 0x48
	s_bfe_u32 s2, ttmp6, 0x40014
	s_lshr_b32 s3, ttmp7, 16
	s_add_co_i32 s2, s2, 1
	s_bfe_u32 s4, ttmp6, 0x40008
	s_mul_i32 s2, s3, s2
	s_getreg_b32 s17, hwreg(HW_REG_IB_STS2, 6, 4)
	s_add_co_i32 s4, s4, s2
	s_cmp_eq_u32 s17, 0
	s_cselect_b32 s2, s3, s4
	s_mov_b32 s3, 0
	s_wait_kmcnt 0x0
	s_cmp_ge_u32 s2, s16
	s_cbranch_scc1 .LBB142_9
; %bb.1:
	s_clause 0x4
	s_load_b32 s22, s[0:1], 0x0
	s_load_b128 s[4:7], s[0:1], 0x20
	s_load_b128 s[8:11], s[0:1], 0x38
	s_load_b64 s[18:19], s[0:1], 0x18
	s_load_b64 s[20:21], s[0:1], 0x30
	s_bfe_u32 s23, ttmp6, 0x4000c
	s_load_b128 s[12:15], s[0:1], 0x8
	s_add_co_i32 s23, s23, 1
	s_wait_xcnt 0x0
	s_and_b32 s0, ttmp6, 15
	s_mul_i32 s1, ttmp9, s23
	v_dual_mov_b32 v1, 0 :: v_dual_lshlrev_b32 v0, 1, v0
	s_add_co_i32 s0, s0, s1
	s_cmp_eq_u32 s17, 0
	s_cselect_b32 s0, ttmp9, s0
	s_delay_alu instid0(VALU_DEP_1) | instid1(SALU_CYCLE_1)
	v_lshl_or_b32 v0, s0, 9, v0
	s_wait_kmcnt 0x0
	s_add_co_i32 s0, s22, -1
	s_lshl_b64 s[4:5], s[4:5], 1
	s_ashr_i32 s1, s0, 31
	s_lshl_b64 s[8:9], s[8:9], 1
	v_cmp_eq_u64_e32 vcc_lo, s[0:1], v[0:1]
	v_cmp_gt_i64_e64 s0, s[0:1], v[0:1]
	v_lshlrev_b64_e32 v[2:3], 1, v[0:1]
	s_bitcmp1_b32 s22, 0
	s_add_nc_u64 s[4:5], s[18:19], s[4:5]
	s_cselect_b32 s1, -1, 0
	s_add_nc_u64 s[8:9], s[20:21], s[8:9]
	s_and_b32 s1, s1, vcc_lo
	s_branch .LBB142_4
.LBB142_2:                              ;   in Loop: Header=BB142_4 Depth=1
	s_wait_xcnt 0x0
	s_or_b32 exec_lo, exec_lo, s17
.LBB142_3:                              ;   in Loop: Header=BB142_4 Depth=1
	s_add_co_i32 s2, s2, 0x10000
	s_delay_alu instid0(SALU_CYCLE_1)
	s_cmp_lt_u32 s2, s16
	s_cbranch_scc0 .LBB142_9
.LBB142_4:                              ; =>This Inner Loop Header: Depth=1
	s_wait_xcnt 0x0
	s_mul_u64 s[18:19], s[14:15], s[2:3]
	s_delay_alu instid0(SALU_CYCLE_1) | instskip(NEXT) | instid1(SALU_CYCLE_1)
	s_lshl_b64 s[18:19], s[18:19], 1
	s_add_nc_u64 s[18:19], s[12:13], s[18:19]
	global_load_u16 v0, v1, s[18:19]
	s_wait_loadcnt 0x0
	v_cmp_eq_f16_e32 vcc_lo, 0, v0
	s_cbranch_vccnz .LBB142_3
; %bb.5:                                ;   in Loop: Header=BB142_4 Depth=1
	s_wait_xcnt 0x0
	s_mul_u64 s[18:19], s[10:11], s[2:3]
	s_mul_u64 s[20:21], s[6:7], s[2:3]
	s_lshl_b64 s[18:19], s[18:19], 1
	s_lshl_b64 s[20:21], s[20:21], 1
	s_add_nc_u64 s[18:19], s[8:9], s[18:19]
	s_add_nc_u64 s[20:21], s[4:5], s[20:21]
	v_add_nc_u64_e32 v[4:5], s[18:19], v[2:3]
	v_add_nc_u64_e32 v[6:7], s[20:21], v[2:3]
	s_and_saveexec_b32 s17, s0
	s_cbranch_execz .LBB142_7
; %bb.6:                                ;   in Loop: Header=BB142_4 Depth=1
	global_load_b32 v9, v[4:5], off
	global_load_b32 v11, v[6:7], off
	v_cvt_f32_f16_e32 v8, v0
	s_wait_loadcnt 0x0
	v_dual_lshrrev_b32 v13, 16, v9 :: v_dual_lshrrev_b32 v14, 16, v11
	v_cvt_f32_f16_e32 v10, v9
	v_cvt_f32_f16_e32 v12, v11
	s_delay_alu instid0(VALU_DEP_3) | instskip(NEXT) | instid1(VALU_DEP_4)
	v_cvt_f32_f16_e32 v11, v13
	v_cvt_f32_f16_e32 v13, v14
	s_delay_alu instid0(VALU_DEP_1) | instskip(NEXT) | instid1(VALU_DEP_1)
	v_pk_fma_f32 v[8:9], v[8:9], v[12:13], v[10:11] op_sel_hi:[0,1,1]
	v_cvt_pk_f16_f32 v8, v8, v9
	global_store_b32 v[4:5], v8, off
.LBB142_7:                              ;   in Loop: Header=BB142_4 Depth=1
	s_wait_xcnt 0x0
	s_or_b32 exec_lo, exec_lo, s17
	s_and_saveexec_b32 s17, s1
	s_cbranch_execz .LBB142_2
; %bb.8:                                ;   in Loop: Header=BB142_4 Depth=1
	global_load_u16 v8, v[4:5], off
	global_load_u16 v9, v[6:7], off
	s_wait_loadcnt 0x0
	v_fma_mixlo_f16 v0, v0, v9, v8 op_sel_hi:[1,1,1]
	global_store_b16 v[4:5], v0, off
	s_branch .LBB142_2
.LBB142_9:
	s_endpgm
	.section	.rodata,"a",@progbits
	.p2align	6, 0x0
	.amdhsa_kernel _ZL22rocblas_saxpy_2_kernelILi256EfPKDF16_S1_PDF16_EviT1_lT2_llT3_lli
		.amdhsa_group_segment_fixed_size 0
		.amdhsa_private_segment_fixed_size 0
		.amdhsa_kernarg_size 76
		.amdhsa_user_sgpr_count 2
		.amdhsa_user_sgpr_dispatch_ptr 0
		.amdhsa_user_sgpr_queue_ptr 0
		.amdhsa_user_sgpr_kernarg_segment_ptr 1
		.amdhsa_user_sgpr_dispatch_id 0
		.amdhsa_user_sgpr_kernarg_preload_length 0
		.amdhsa_user_sgpr_kernarg_preload_offset 0
		.amdhsa_user_sgpr_private_segment_size 0
		.amdhsa_wavefront_size32 1
		.amdhsa_uses_dynamic_stack 0
		.amdhsa_enable_private_segment 0
		.amdhsa_system_sgpr_workgroup_id_x 1
		.amdhsa_system_sgpr_workgroup_id_y 0
		.amdhsa_system_sgpr_workgroup_id_z 1
		.amdhsa_system_sgpr_workgroup_info 0
		.amdhsa_system_vgpr_workitem_id 0
		.amdhsa_next_free_vgpr 15
		.amdhsa_next_free_sgpr 24
		.amdhsa_named_barrier_count 0
		.amdhsa_reserve_vcc 1
		.amdhsa_float_round_mode_32 0
		.amdhsa_float_round_mode_16_64 0
		.amdhsa_float_denorm_mode_32 3
		.amdhsa_float_denorm_mode_16_64 3
		.amdhsa_fp16_overflow 0
		.amdhsa_memory_ordered 1
		.amdhsa_forward_progress 1
		.amdhsa_inst_pref_size 5
		.amdhsa_round_robin_scheduling 0
		.amdhsa_exception_fp_ieee_invalid_op 0
		.amdhsa_exception_fp_denorm_src 0
		.amdhsa_exception_fp_ieee_div_zero 0
		.amdhsa_exception_fp_ieee_overflow 0
		.amdhsa_exception_fp_ieee_underflow 0
		.amdhsa_exception_fp_ieee_inexact 0
		.amdhsa_exception_int_div_zero 0
	.end_amdhsa_kernel
	.section	.text._ZL22rocblas_saxpy_2_kernelILi256EfPKDF16_S1_PDF16_EviT1_lT2_llT3_lli,"axG",@progbits,_ZL22rocblas_saxpy_2_kernelILi256EfPKDF16_S1_PDF16_EviT1_lT2_llT3_lli,comdat
.Lfunc_end142:
	.size	_ZL22rocblas_saxpy_2_kernelILi256EfPKDF16_S1_PDF16_EviT1_lT2_llT3_lli, .Lfunc_end142-_ZL22rocblas_saxpy_2_kernelILi256EfPKDF16_S1_PDF16_EviT1_lT2_llT3_lli
                                        ; -- End function
	.set _ZL22rocblas_saxpy_2_kernelILi256EfPKDF16_S1_PDF16_EviT1_lT2_llT3_lli.num_vgpr, 15
	.set _ZL22rocblas_saxpy_2_kernelILi256EfPKDF16_S1_PDF16_EviT1_lT2_llT3_lli.num_agpr, 0
	.set _ZL22rocblas_saxpy_2_kernelILi256EfPKDF16_S1_PDF16_EviT1_lT2_llT3_lli.numbered_sgpr, 24
	.set _ZL22rocblas_saxpy_2_kernelILi256EfPKDF16_S1_PDF16_EviT1_lT2_llT3_lli.num_named_barrier, 0
	.set _ZL22rocblas_saxpy_2_kernelILi256EfPKDF16_S1_PDF16_EviT1_lT2_llT3_lli.private_seg_size, 0
	.set _ZL22rocblas_saxpy_2_kernelILi256EfPKDF16_S1_PDF16_EviT1_lT2_llT3_lli.uses_vcc, 1
	.set _ZL22rocblas_saxpy_2_kernelILi256EfPKDF16_S1_PDF16_EviT1_lT2_llT3_lli.uses_flat_scratch, 0
	.set _ZL22rocblas_saxpy_2_kernelILi256EfPKDF16_S1_PDF16_EviT1_lT2_llT3_lli.has_dyn_sized_stack, 0
	.set _ZL22rocblas_saxpy_2_kernelILi256EfPKDF16_S1_PDF16_EviT1_lT2_llT3_lli.has_recursion, 0
	.set _ZL22rocblas_saxpy_2_kernelILi256EfPKDF16_S1_PDF16_EviT1_lT2_llT3_lli.has_indirect_call, 0
	.section	.AMDGPU.csdata,"",@progbits
; Kernel info:
; codeLenInByte = 520
; TotalNumSgprs: 26
; NumVgprs: 15
; ScratchSize: 0
; MemoryBound: 0
; FloatMode: 240
; IeeeMode: 1
; LDSByteSize: 0 bytes/workgroup (compile time only)
; SGPRBlocks: 0
; VGPRBlocks: 0
; NumSGPRsForWavesPerEU: 26
; NumVGPRsForWavesPerEU: 15
; NamedBarCnt: 0
; Occupancy: 16
; WaveLimiterHint : 0
; COMPUTE_PGM_RSRC2:SCRATCH_EN: 0
; COMPUTE_PGM_RSRC2:USER_SGPR: 2
; COMPUTE_PGM_RSRC2:TRAP_HANDLER: 0
; COMPUTE_PGM_RSRC2:TGID_X_EN: 1
; COMPUTE_PGM_RSRC2:TGID_Y_EN: 0
; COMPUTE_PGM_RSRC2:TGID_Z_EN: 1
; COMPUTE_PGM_RSRC2:TIDIG_COMP_CNT: 0
	.section	.text._ZL22rocblas_saxpy_2_kernelILi256EfDF16_PKDF16_PDF16_EviT1_lT2_llT3_lli,"axG",@progbits,_ZL22rocblas_saxpy_2_kernelILi256EfDF16_PKDF16_PDF16_EviT1_lT2_llT3_lli,comdat
	.globl	_ZL22rocblas_saxpy_2_kernelILi256EfDF16_PKDF16_PDF16_EviT1_lT2_llT3_lli ; -- Begin function _ZL22rocblas_saxpy_2_kernelILi256EfDF16_PKDF16_PDF16_EviT1_lT2_llT3_lli
	.p2align	8
	.type	_ZL22rocblas_saxpy_2_kernelILi256EfDF16_PKDF16_PDF16_EviT1_lT2_llT3_lli,@function
_ZL22rocblas_saxpy_2_kernelILi256EfDF16_PKDF16_PDF16_EviT1_lT2_llT3_lli: ; @_ZL22rocblas_saxpy_2_kernelILi256EfDF16_PKDF16_PDF16_EviT1_lT2_llT3_lli
; %bb.0:
	s_load_b32 s14, s[0:1], 0x40
	s_bfe_u32 s2, ttmp6, 0x40014
	s_lshr_b32 s3, ttmp7, 16
	s_add_co_i32 s2, s2, 1
	s_bfe_u32 s4, ttmp6, 0x40008
	s_mul_i32 s2, s3, s2
	s_getreg_b32 s12, hwreg(HW_REG_IB_STS2, 6, 4)
	s_add_co_i32 s4, s4, s2
	s_cmp_eq_u32 s12, 0
	s_cselect_b32 s2, s3, s4
	s_mov_b32 s3, 0
	s_wait_kmcnt 0x0
	s_cmp_ge_u32 s2, s14
	s_cbranch_scc1 .LBB143_9
; %bb.1:
	s_clause 0x3
	s_load_b128 s[4:7], s[0:1], 0x18
	s_load_b128 s[8:11], s[0:1], 0x30
	s_load_b64 s[16:17], s[0:1], 0x0
	s_load_b64 s[18:19], s[0:1], 0x28
	s_bfe_u32 s13, ttmp6, 0x4000c
	s_load_b64 s[20:21], s[0:1], 0x10
	s_add_co_i32 s13, s13, 1
	s_wait_xcnt 0x0
	s_and_b32 s0, ttmp6, 15
	s_mul_i32 s1, ttmp9, s13
	v_dual_mov_b32 v3, 0 :: v_dual_lshlrev_b32 v0, 1, v0
	s_add_co_i32 s0, s0, s1
	s_cmp_eq_u32 s12, 0
	s_cselect_b32 s0, ttmp9, s0
	s_delay_alu instid0(VALU_DEP_1) | instid1(SALU_CYCLE_1)
	v_lshl_or_b32 v2, s0, 9, v0
	s_wait_kmcnt 0x0
	s_lshl_b64 s[12:13], s[4:5], 1
	s_lshl_b64 s[22:23], s[8:9], 1
	s_cmp_neq_f16 s17, 0
	v_lshlrev_b64_e32 v[0:1], 1, v[2:3]
	s_cvt_f32_f16 s4, s17
	s_add_nc_u64 s[8:9], s[20:21], s[12:13]
	s_cselect_b32 s1, -1, 0
	s_add_co_i32 s24, s16, -1
	s_add_nc_u64 s[12:13], s[18:19], s[22:23]
	s_ashr_i32 s25, s24, 31
	s_bitcmp1_b32 s16, 0
	v_cmp_eq_u64_e32 vcc_lo, s[24:25], v[2:3]
	v_cmp_gt_i64_e64 s0, s[24:25], v[2:3]
	s_cselect_b32 s5, -1, 0
	s_delay_alu instid0(SALU_CYCLE_1)
	s_and_b32 s15, s5, vcc_lo
	s_mov_b32 s5, s4
	s_branch .LBB143_4
.LBB143_2:                              ;   in Loop: Header=BB143_4 Depth=1
	s_wait_xcnt 0x0
	s_or_b32 exec_lo, exec_lo, s16
.LBB143_3:                              ;   in Loop: Header=BB143_4 Depth=1
	s_add_co_i32 s2, s2, 0x10000
	s_delay_alu instid0(SALU_CYCLE_1)
	s_cmp_lt_u32 s2, s14
	s_cbranch_scc0 .LBB143_9
.LBB143_4:                              ; =>This Inner Loop Header: Depth=1
	s_and_not1_b32 vcc_lo, exec_lo, s1
	s_cbranch_vccnz .LBB143_3
; %bb.5:                                ;   in Loop: Header=BB143_4 Depth=1
	s_mul_u64 s[16:17], s[10:11], s[2:3]
	s_mul_u64 s[18:19], s[6:7], s[2:3]
	s_lshl_b64 s[16:17], s[16:17], 1
	s_lshl_b64 s[18:19], s[18:19], 1
	s_add_nc_u64 s[16:17], s[12:13], s[16:17]
	s_add_nc_u64 s[18:19], s[8:9], s[18:19]
	v_add_nc_u64_e32 v[2:3], s[16:17], v[0:1]
	v_add_nc_u64_e32 v[4:5], s[18:19], v[0:1]
	s_and_saveexec_b32 s16, s0
	s_cbranch_execz .LBB143_7
; %bb.6:                                ;   in Loop: Header=BB143_4 Depth=1
	global_load_b32 v6, v[2:3], off
	global_load_b32 v7, v[4:5], off
	s_wait_loadcnt 0x0
	v_dual_lshrrev_b32 v9, 16, v6 :: v_dual_lshrrev_b32 v10, 16, v7
	v_cvt_f32_f16_e32 v8, v7
	v_cvt_f32_f16_e32 v6, v6
	s_delay_alu instid0(VALU_DEP_3) | instskip(NEXT) | instid1(VALU_DEP_4)
	v_cvt_f32_f16_e32 v7, v9
	v_cvt_f32_f16_e32 v9, v10
	v_mov_b64_e32 v[10:11], s[4:5]
	s_delay_alu instid0(VALU_DEP_1) | instskip(NEXT) | instid1(VALU_DEP_1)
	v_pk_fma_f32 v[6:7], v[10:11], v[8:9], v[6:7]
	v_cvt_pk_f16_f32 v6, v6, v7
	global_store_b32 v[2:3], v6, off
.LBB143_7:                              ;   in Loop: Header=BB143_4 Depth=1
	s_wait_xcnt 0x0
	s_or_b32 exec_lo, exec_lo, s16
	s_and_saveexec_b32 s16, s15
	s_cbranch_execz .LBB143_2
; %bb.8:                                ;   in Loop: Header=BB143_4 Depth=1
	global_load_u16 v6, v[2:3], off
	global_load_u16 v7, v[4:5], off
	s_wait_loadcnt 0x0
	v_fma_mixlo_f16 v4, s4, v7, v6 op_sel_hi:[0,1,1]
	global_store_b16 v[2:3], v4, off
	s_branch .LBB143_2
.LBB143_9:
	s_endpgm
	.section	.rodata,"a",@progbits
	.p2align	6, 0x0
	.amdhsa_kernel _ZL22rocblas_saxpy_2_kernelILi256EfDF16_PKDF16_PDF16_EviT1_lT2_llT3_lli
		.amdhsa_group_segment_fixed_size 0
		.amdhsa_private_segment_fixed_size 0
		.amdhsa_kernarg_size 68
		.amdhsa_user_sgpr_count 2
		.amdhsa_user_sgpr_dispatch_ptr 0
		.amdhsa_user_sgpr_queue_ptr 0
		.amdhsa_user_sgpr_kernarg_segment_ptr 1
		.amdhsa_user_sgpr_dispatch_id 0
		.amdhsa_user_sgpr_kernarg_preload_length 0
		.amdhsa_user_sgpr_kernarg_preload_offset 0
		.amdhsa_user_sgpr_private_segment_size 0
		.amdhsa_wavefront_size32 1
		.amdhsa_uses_dynamic_stack 0
		.amdhsa_enable_private_segment 0
		.amdhsa_system_sgpr_workgroup_id_x 1
		.amdhsa_system_sgpr_workgroup_id_y 0
		.amdhsa_system_sgpr_workgroup_id_z 1
		.amdhsa_system_sgpr_workgroup_info 0
		.amdhsa_system_vgpr_workitem_id 0
		.amdhsa_next_free_vgpr 12
		.amdhsa_next_free_sgpr 26
		.amdhsa_named_barrier_count 0
		.amdhsa_reserve_vcc 1
		.amdhsa_float_round_mode_32 0
		.amdhsa_float_round_mode_16_64 0
		.amdhsa_float_denorm_mode_32 3
		.amdhsa_float_denorm_mode_16_64 3
		.amdhsa_fp16_overflow 0
		.amdhsa_memory_ordered 1
		.amdhsa_forward_progress 1
		.amdhsa_inst_pref_size 4
		.amdhsa_round_robin_scheduling 0
		.amdhsa_exception_fp_ieee_invalid_op 0
		.amdhsa_exception_fp_denorm_src 0
		.amdhsa_exception_fp_ieee_div_zero 0
		.amdhsa_exception_fp_ieee_overflow 0
		.amdhsa_exception_fp_ieee_underflow 0
		.amdhsa_exception_fp_ieee_inexact 0
		.amdhsa_exception_int_div_zero 0
	.end_amdhsa_kernel
	.section	.text._ZL22rocblas_saxpy_2_kernelILi256EfDF16_PKDF16_PDF16_EviT1_lT2_llT3_lli,"axG",@progbits,_ZL22rocblas_saxpy_2_kernelILi256EfDF16_PKDF16_PDF16_EviT1_lT2_llT3_lli,comdat
.Lfunc_end143:
	.size	_ZL22rocblas_saxpy_2_kernelILi256EfDF16_PKDF16_PDF16_EviT1_lT2_llT3_lli, .Lfunc_end143-_ZL22rocblas_saxpy_2_kernelILi256EfDF16_PKDF16_PDF16_EviT1_lT2_llT3_lli
                                        ; -- End function
	.set _ZL22rocblas_saxpy_2_kernelILi256EfDF16_PKDF16_PDF16_EviT1_lT2_llT3_lli.num_vgpr, 12
	.set _ZL22rocblas_saxpy_2_kernelILi256EfDF16_PKDF16_PDF16_EviT1_lT2_llT3_lli.num_agpr, 0
	.set _ZL22rocblas_saxpy_2_kernelILi256EfDF16_PKDF16_PDF16_EviT1_lT2_llT3_lli.numbered_sgpr, 26
	.set _ZL22rocblas_saxpy_2_kernelILi256EfDF16_PKDF16_PDF16_EviT1_lT2_llT3_lli.num_named_barrier, 0
	.set _ZL22rocblas_saxpy_2_kernelILi256EfDF16_PKDF16_PDF16_EviT1_lT2_llT3_lli.private_seg_size, 0
	.set _ZL22rocblas_saxpy_2_kernelILi256EfDF16_PKDF16_PDF16_EviT1_lT2_llT3_lli.uses_vcc, 1
	.set _ZL22rocblas_saxpy_2_kernelILi256EfDF16_PKDF16_PDF16_EviT1_lT2_llT3_lli.uses_flat_scratch, 0
	.set _ZL22rocblas_saxpy_2_kernelILi256EfDF16_PKDF16_PDF16_EviT1_lT2_llT3_lli.has_dyn_sized_stack, 0
	.set _ZL22rocblas_saxpy_2_kernelILi256EfDF16_PKDF16_PDF16_EviT1_lT2_llT3_lli.has_recursion, 0
	.set _ZL22rocblas_saxpy_2_kernelILi256EfDF16_PKDF16_PDF16_EviT1_lT2_llT3_lli.has_indirect_call, 0
	.section	.AMDGPU.csdata,"",@progbits
; Kernel info:
; codeLenInByte = 492
; TotalNumSgprs: 28
; NumVgprs: 12
; ScratchSize: 0
; MemoryBound: 0
; FloatMode: 240
; IeeeMode: 1
; LDSByteSize: 0 bytes/workgroup (compile time only)
; SGPRBlocks: 0
; VGPRBlocks: 0
; NumSGPRsForWavesPerEU: 28
; NumVGPRsForWavesPerEU: 12
; NamedBarCnt: 0
; Occupancy: 16
; WaveLimiterHint : 0
; COMPUTE_PGM_RSRC2:SCRATCH_EN: 0
; COMPUTE_PGM_RSRC2:USER_SGPR: 2
; COMPUTE_PGM_RSRC2:TRAP_HANDLER: 0
; COMPUTE_PGM_RSRC2:TGID_X_EN: 1
; COMPUTE_PGM_RSRC2:TGID_Y_EN: 0
; COMPUTE_PGM_RSRC2:TGID_Z_EN: 1
; COMPUTE_PGM_RSRC2:TIDIG_COMP_CNT: 0
	.section	.text._ZL27rocblas_axpy_kernel_batchedIiLi128ELi8EfPKDF16_S1_PDF16_EviT3_lT4_lT_lT5_lS5_li,"axG",@progbits,_ZL27rocblas_axpy_kernel_batchedIiLi128ELi8EfPKDF16_S1_PDF16_EviT3_lT4_lT_lT5_lS5_li,comdat
	.globl	_ZL27rocblas_axpy_kernel_batchedIiLi128ELi8EfPKDF16_S1_PDF16_EviT3_lT4_lT_lT5_lS5_li ; -- Begin function _ZL27rocblas_axpy_kernel_batchedIiLi128ELi8EfPKDF16_S1_PDF16_EviT3_lT4_lT_lT5_lS5_li
	.p2align	8
	.type	_ZL27rocblas_axpy_kernel_batchedIiLi128ELi8EfPKDF16_S1_PDF16_EviT3_lT4_lT_lT5_lS5_li,@function
_ZL27rocblas_axpy_kernel_batchedIiLi128ELi8EfPKDF16_S1_PDF16_EviT3_lT4_lT_lT5_lS5_li: ; @_ZL27rocblas_axpy_kernel_batchedIiLi128ELi8EfPKDF16_S1_PDF16_EviT3_lT4_lT_lT5_lS5_li
; %bb.0:
	s_load_b32 s4, s[0:1], 0x0
	s_bfe_u32 s2, ttmp6, 0x4000c
	s_and_b32 s3, ttmp6, 15
	s_add_co_i32 s5, s2, 1
	s_getreg_b32 s2, hwreg(HW_REG_IB_STS2, 6, 4)
	s_mul_i32 s5, ttmp9, s5
	v_and_b32_e32 v1, 0x3ff, v0
	s_add_co_i32 s3, s3, s5
	v_mov_b32_e32 v3, 0
	s_wait_kmcnt 0x0
	s_ashr_i32 s5, s4, 31
	s_cmp_eq_u32 s2, 0
	s_cselect_b32 s3, ttmp9, s3
	s_delay_alu instid0(SALU_CYCLE_1) | instskip(SKIP_1) | instid1(VALU_DEP_1)
	v_lshl_add_u32 v2, s3, 7, v1
	s_mov_b32 s3, exec_lo
	v_cmpx_gt_i64_e64 s[4:5], v[2:3]
	s_cbranch_execz .LBB144_15
; %bb.1:
	s_load_b32 s16, s[0:1], 0x58
	s_bfe_u32 s3, ttmp6, 0x40014
	v_lshrrev_b32_e32 v0, 8, v0
	s_lshr_b32 s4, ttmp7, 16
	s_add_co_i32 s3, s3, 1
	s_bfe_u32 s5, ttmp6, 0x40008
	s_mul_i32 s3, s4, s3
	v_and_b32_e32 v0, 0xffc, v0
	s_add_co_i32 s5, s5, s3
	s_cmp_eq_u32 s2, 0
	s_cselect_b32 s2, s4, s5
	s_delay_alu instid0(VALU_DEP_1) | instid1(SALU_CYCLE_1)
	v_lshl_add_u32 v0, s2, 5, v0
	s_wait_kmcnt 0x0
	s_delay_alu instid0(VALU_DEP_1)
	v_cmp_gt_u32_e32 vcc_lo, s16, v0
	s_and_b32 exec_lo, exec_lo, vcc_lo
	s_cbranch_execz .LBB144_15
; %bb.2:
	s_clause 0x4
	s_load_b32 s4, s[0:1], 0x28
	s_load_b96 s[20:22], s[0:1], 0x40
	s_load_b128 s[12:15], s[0:1], 0x30
	s_load_b64 s[2:3], s[0:1], 0x50
	s_load_b32 s17, s[0:1], 0x68
	v_mov_b32_e32 v1, 0
	s_wait_kmcnt 0x0
	s_ashr_i32 s5, s4, 31
	s_ashr_i32 s7, s22, 31
	s_mov_b32 s6, s22
	v_mul_u64_e32 v[4:5], s[4:5], v[2:3]
	v_mul_u64_e32 v[6:7], s[6:7], v[2:3]
	s_load_b256 s[4:11], s[0:1], 0x8
	s_wait_kmcnt 0x0
	s_lshl_b64 s[0:1], s[10:11], 1
	s_lshl_b64 s[10:11], s[20:21], 1
	s_add_nc_u64 s[0:1], s[8:9], s[0:1]
	s_add_nc_u64 s[8:9], s[14:15], s[10:11]
	s_delay_alu instid0(VALU_DEP_2) | instskip(NEXT) | instid1(VALU_DEP_2)
	v_lshl_add_u64 v[2:3], v[4:5], 1, s[0:1]
	v_lshl_add_u64 v[4:5], v[6:7], 1, s[8:9]
	s_lshl_b32 s0, s17, 5
	s_mov_b32 s1, 0
	s_branch .LBB144_4
.LBB144_3:                              ;   in Loop: Header=BB144_4 Depth=1
	s_wait_xcnt 0x0
	s_or_b32 exec_lo, exec_lo, s8
	v_add_nc_u32_e32 v0, s0, v0
	s_delay_alu instid0(VALU_DEP_1) | instskip(SKIP_1) | instid1(SALU_CYCLE_1)
	v_cmp_le_u32_e32 vcc_lo, s16, v0
	s_or_b32 s1, vcc_lo, s1
	s_and_not1_b32 exec_lo, exec_lo, s1
	s_cbranch_execz .LBB144_15
.LBB144_4:                              ; =>This Inner Loop Header: Depth=1
	v_mul_u64_e32 v[6:7], s[6:7], v[0:1]
	s_mov_b32 s8, exec_lo
	s_delay_alu instid0(VALU_DEP_1)
	v_lshl_add_u64 v[6:7], v[6:7], 1, s[4:5]
	global_load_u16 v6, v[6:7], off
	s_wait_loadcnt 0x0
	s_wait_xcnt 0x0
	v_cmpx_neq_f16_e32 0, v6
	s_cbranch_execz .LBB144_6
; %bb.5:                                ;   in Loop: Header=BB144_4 Depth=1
	v_mul_u64_e32 v[8:9], s[2:3], v[0:1]
	v_mul_u64_e32 v[10:11], s[12:13], v[0:1]
	s_delay_alu instid0(VALU_DEP_2) | instskip(NEXT) | instid1(VALU_DEP_2)
	v_lshl_add_u64 v[8:9], v[8:9], 1, v[4:5]
	v_lshl_add_u64 v[10:11], v[10:11], 1, v[2:3]
	global_load_u16 v7, v[8:9], off
	global_load_u16 v12, v[10:11], off
	s_wait_loadcnt 0x0
	v_fma_mixlo_f16 v6, v6, v12, v7 op_sel_hi:[1,1,1]
	global_store_b16 v[8:9], v6, off
.LBB144_6:                              ;   in Loop: Header=BB144_4 Depth=1
	s_wait_xcnt 0x0
	s_or_b32 exec_lo, exec_lo, s8
	v_add_nc_u32_e32 v6, 1, v0
	s_mov_b32 s8, exec_lo
	s_delay_alu instid0(VALU_DEP_1)
	v_cmpx_gt_u32_e64 s16, v6
	s_cbranch_execz .LBB144_9
; %bb.7:                                ;   in Loop: Header=BB144_4 Depth=1
	v_mov_b32_e32 v7, v1
	s_delay_alu instid0(VALU_DEP_1) | instskip(NEXT) | instid1(VALU_DEP_1)
	v_mul_u64_e32 v[8:9], s[6:7], v[6:7]
	v_lshl_add_u64 v[8:9], v[8:9], 1, s[4:5]
	global_load_u16 v8, v[8:9], off
	s_wait_loadcnt 0x0
	v_cmp_neq_f16_e32 vcc_lo, 0, v8
	s_wait_xcnt 0x0
	s_and_b32 exec_lo, exec_lo, vcc_lo
	s_cbranch_execz .LBB144_9
; %bb.8:                                ;   in Loop: Header=BB144_4 Depth=1
	v_mul_u64_e32 v[10:11], s[2:3], v[6:7]
	v_mul_u64_e32 v[6:7], s[12:13], v[6:7]
	s_delay_alu instid0(VALU_DEP_2) | instskip(NEXT) | instid1(VALU_DEP_2)
	v_lshl_add_u64 v[10:11], v[10:11], 1, v[4:5]
	v_lshl_add_u64 v[6:7], v[6:7], 1, v[2:3]
	global_load_u16 v9, v[10:11], off
	global_load_u16 v12, v[6:7], off
	s_wait_loadcnt 0x0
	v_fma_mixlo_f16 v6, v8, v12, v9 op_sel_hi:[1,1,1]
	global_store_b16 v[10:11], v6, off
.LBB144_9:                              ;   in Loop: Header=BB144_4 Depth=1
	s_wait_xcnt 0x0
	s_or_b32 exec_lo, exec_lo, s8
	v_add_nc_u32_e32 v6, 2, v0
	s_mov_b32 s8, exec_lo
	s_delay_alu instid0(VALU_DEP_1)
	v_cmpx_gt_u32_e64 s16, v6
	s_cbranch_execz .LBB144_12
; %bb.10:                               ;   in Loop: Header=BB144_4 Depth=1
	v_mov_b32_e32 v7, v1
	s_delay_alu instid0(VALU_DEP_1) | instskip(NEXT) | instid1(VALU_DEP_1)
	v_mul_u64_e32 v[8:9], s[6:7], v[6:7]
	v_lshl_add_u64 v[8:9], v[8:9], 1, s[4:5]
	global_load_u16 v8, v[8:9], off
	s_wait_loadcnt 0x0
	v_cmp_neq_f16_e32 vcc_lo, 0, v8
	s_wait_xcnt 0x0
	s_and_b32 exec_lo, exec_lo, vcc_lo
	s_cbranch_execz .LBB144_12
; %bb.11:                               ;   in Loop: Header=BB144_4 Depth=1
	v_mul_u64_e32 v[10:11], s[2:3], v[6:7]
	v_mul_u64_e32 v[6:7], s[12:13], v[6:7]
	s_delay_alu instid0(VALU_DEP_2) | instskip(NEXT) | instid1(VALU_DEP_2)
	v_lshl_add_u64 v[10:11], v[10:11], 1, v[4:5]
	v_lshl_add_u64 v[6:7], v[6:7], 1, v[2:3]
	global_load_u16 v9, v[10:11], off
	global_load_u16 v12, v[6:7], off
	s_wait_loadcnt 0x0
	v_fma_mixlo_f16 v6, v8, v12, v9 op_sel_hi:[1,1,1]
	global_store_b16 v[10:11], v6, off
.LBB144_12:                             ;   in Loop: Header=BB144_4 Depth=1
	s_wait_xcnt 0x0
	s_or_b32 exec_lo, exec_lo, s8
	v_add_nc_u32_e32 v6, 3, v0
	s_mov_b32 s8, exec_lo
	s_delay_alu instid0(VALU_DEP_1)
	v_cmpx_gt_u32_e64 s16, v6
	s_cbranch_execz .LBB144_3
; %bb.13:                               ;   in Loop: Header=BB144_4 Depth=1
	v_mov_b32_e32 v7, v1
	s_delay_alu instid0(VALU_DEP_1) | instskip(NEXT) | instid1(VALU_DEP_1)
	v_mul_u64_e32 v[8:9], s[6:7], v[6:7]
	v_lshl_add_u64 v[8:9], v[8:9], 1, s[4:5]
	global_load_u16 v8, v[8:9], off
	s_wait_loadcnt 0x0
	v_cmp_neq_f16_e32 vcc_lo, 0, v8
	s_wait_xcnt 0x0
	s_and_b32 exec_lo, exec_lo, vcc_lo
	s_cbranch_execz .LBB144_3
; %bb.14:                               ;   in Loop: Header=BB144_4 Depth=1
	v_mul_u64_e32 v[10:11], s[2:3], v[6:7]
	v_mul_u64_e32 v[6:7], s[12:13], v[6:7]
	s_delay_alu instid0(VALU_DEP_2) | instskip(NEXT) | instid1(VALU_DEP_2)
	v_lshl_add_u64 v[10:11], v[10:11], 1, v[4:5]
	v_lshl_add_u64 v[6:7], v[6:7], 1, v[2:3]
	global_load_u16 v9, v[10:11], off
	global_load_u16 v12, v[6:7], off
	s_wait_loadcnt 0x0
	v_fma_mixlo_f16 v6, v8, v12, v9 op_sel_hi:[1,1,1]
	global_store_b16 v[10:11], v6, off
	s_branch .LBB144_3
.LBB144_15:
	s_endpgm
	.section	.rodata,"a",@progbits
	.p2align	6, 0x0
	.amdhsa_kernel _ZL27rocblas_axpy_kernel_batchedIiLi128ELi8EfPKDF16_S1_PDF16_EviT3_lT4_lT_lT5_lS5_li
		.amdhsa_group_segment_fixed_size 0
		.amdhsa_private_segment_fixed_size 0
		.amdhsa_kernarg_size 352
		.amdhsa_user_sgpr_count 2
		.amdhsa_user_sgpr_dispatch_ptr 0
		.amdhsa_user_sgpr_queue_ptr 0
		.amdhsa_user_sgpr_kernarg_segment_ptr 1
		.amdhsa_user_sgpr_dispatch_id 0
		.amdhsa_user_sgpr_kernarg_preload_length 0
		.amdhsa_user_sgpr_kernarg_preload_offset 0
		.amdhsa_user_sgpr_private_segment_size 0
		.amdhsa_wavefront_size32 1
		.amdhsa_uses_dynamic_stack 0
		.amdhsa_enable_private_segment 0
		.amdhsa_system_sgpr_workgroup_id_x 1
		.amdhsa_system_sgpr_workgroup_id_y 0
		.amdhsa_system_sgpr_workgroup_id_z 1
		.amdhsa_system_sgpr_workgroup_info 0
		.amdhsa_system_vgpr_workitem_id 1
		.amdhsa_next_free_vgpr 13
		.amdhsa_next_free_sgpr 23
		.amdhsa_named_barrier_count 0
		.amdhsa_reserve_vcc 1
		.amdhsa_float_round_mode_32 0
		.amdhsa_float_round_mode_16_64 0
		.amdhsa_float_denorm_mode_32 3
		.amdhsa_float_denorm_mode_16_64 3
		.amdhsa_fp16_overflow 0
		.amdhsa_memory_ordered 1
		.amdhsa_forward_progress 1
		.amdhsa_inst_pref_size 8
		.amdhsa_round_robin_scheduling 0
		.amdhsa_exception_fp_ieee_invalid_op 0
		.amdhsa_exception_fp_denorm_src 0
		.amdhsa_exception_fp_ieee_div_zero 0
		.amdhsa_exception_fp_ieee_overflow 0
		.amdhsa_exception_fp_ieee_underflow 0
		.amdhsa_exception_fp_ieee_inexact 0
		.amdhsa_exception_int_div_zero 0
	.end_amdhsa_kernel
	.section	.text._ZL27rocblas_axpy_kernel_batchedIiLi128ELi8EfPKDF16_S1_PDF16_EviT3_lT4_lT_lT5_lS5_li,"axG",@progbits,_ZL27rocblas_axpy_kernel_batchedIiLi128ELi8EfPKDF16_S1_PDF16_EviT3_lT4_lT_lT5_lS5_li,comdat
.Lfunc_end144:
	.size	_ZL27rocblas_axpy_kernel_batchedIiLi128ELi8EfPKDF16_S1_PDF16_EviT3_lT4_lT_lT5_lS5_li, .Lfunc_end144-_ZL27rocblas_axpy_kernel_batchedIiLi128ELi8EfPKDF16_S1_PDF16_EviT3_lT4_lT_lT5_lS5_li
                                        ; -- End function
	.set _ZL27rocblas_axpy_kernel_batchedIiLi128ELi8EfPKDF16_S1_PDF16_EviT3_lT4_lT_lT5_lS5_li.num_vgpr, 13
	.set _ZL27rocblas_axpy_kernel_batchedIiLi128ELi8EfPKDF16_S1_PDF16_EviT3_lT4_lT_lT5_lS5_li.num_agpr, 0
	.set _ZL27rocblas_axpy_kernel_batchedIiLi128ELi8EfPKDF16_S1_PDF16_EviT3_lT4_lT_lT5_lS5_li.numbered_sgpr, 23
	.set _ZL27rocblas_axpy_kernel_batchedIiLi128ELi8EfPKDF16_S1_PDF16_EviT3_lT4_lT_lT5_lS5_li.num_named_barrier, 0
	.set _ZL27rocblas_axpy_kernel_batchedIiLi128ELi8EfPKDF16_S1_PDF16_EviT3_lT4_lT_lT5_lS5_li.private_seg_size, 0
	.set _ZL27rocblas_axpy_kernel_batchedIiLi128ELi8EfPKDF16_S1_PDF16_EviT3_lT4_lT_lT5_lS5_li.uses_vcc, 1
	.set _ZL27rocblas_axpy_kernel_batchedIiLi128ELi8EfPKDF16_S1_PDF16_EviT3_lT4_lT_lT5_lS5_li.uses_flat_scratch, 0
	.set _ZL27rocblas_axpy_kernel_batchedIiLi128ELi8EfPKDF16_S1_PDF16_EviT3_lT4_lT_lT5_lS5_li.has_dyn_sized_stack, 0
	.set _ZL27rocblas_axpy_kernel_batchedIiLi128ELi8EfPKDF16_S1_PDF16_EviT3_lT4_lT_lT5_lS5_li.has_recursion, 0
	.set _ZL27rocblas_axpy_kernel_batchedIiLi128ELi8EfPKDF16_S1_PDF16_EviT3_lT4_lT_lT5_lS5_li.has_indirect_call, 0
	.section	.AMDGPU.csdata,"",@progbits
; Kernel info:
; codeLenInByte = 960
; TotalNumSgprs: 25
; NumVgprs: 13
; ScratchSize: 0
; MemoryBound: 0
; FloatMode: 240
; IeeeMode: 1
; LDSByteSize: 0 bytes/workgroup (compile time only)
; SGPRBlocks: 0
; VGPRBlocks: 0
; NumSGPRsForWavesPerEU: 25
; NumVGPRsForWavesPerEU: 13
; NamedBarCnt: 0
; Occupancy: 16
; WaveLimiterHint : 0
; COMPUTE_PGM_RSRC2:SCRATCH_EN: 0
; COMPUTE_PGM_RSRC2:USER_SGPR: 2
; COMPUTE_PGM_RSRC2:TRAP_HANDLER: 0
; COMPUTE_PGM_RSRC2:TGID_X_EN: 1
; COMPUTE_PGM_RSRC2:TGID_Y_EN: 0
; COMPUTE_PGM_RSRC2:TGID_Z_EN: 1
; COMPUTE_PGM_RSRC2:TIDIG_COMP_CNT: 1
	.section	.text._ZL27rocblas_axpy_kernel_batchedIiLi128ELi8EfDF16_PKDF16_PDF16_EviT3_lT4_lT_lT5_lS5_li,"axG",@progbits,_ZL27rocblas_axpy_kernel_batchedIiLi128ELi8EfDF16_PKDF16_PDF16_EviT3_lT4_lT_lT5_lS5_li,comdat
	.globl	_ZL27rocblas_axpy_kernel_batchedIiLi128ELi8EfDF16_PKDF16_PDF16_EviT3_lT4_lT_lT5_lS5_li ; -- Begin function _ZL27rocblas_axpy_kernel_batchedIiLi128ELi8EfDF16_PKDF16_PDF16_EviT3_lT4_lT_lT5_lS5_li
	.p2align	8
	.type	_ZL27rocblas_axpy_kernel_batchedIiLi128ELi8EfDF16_PKDF16_PDF16_EviT3_lT4_lT_lT5_lS5_li,@function
_ZL27rocblas_axpy_kernel_batchedIiLi128ELi8EfDF16_PKDF16_PDF16_EviT3_lT4_lT_lT5_lS5_li: ; @_ZL27rocblas_axpy_kernel_batchedIiLi128ELi8EfDF16_PKDF16_PDF16_EviT3_lT4_lT_lT5_lS5_li
; %bb.0:
	s_load_b64 s[8:9], s[0:1], 0x0
	s_bfe_u32 s2, ttmp6, 0x4000c
	s_and_b32 s3, ttmp6, 15
	s_add_co_i32 s4, s2, 1
	s_getreg_b32 s2, hwreg(HW_REG_IB_STS2, 6, 4)
	s_mul_i32 s4, ttmp9, s4
	v_and_b32_e32 v1, 0x3ff, v0
	s_add_co_i32 s3, s3, s4
	s_cmp_eq_u32 s2, 0
	v_mov_b32_e32 v3, 0
	s_cselect_b32 s3, ttmp9, s3
	s_delay_alu instid0(SALU_CYCLE_1) | instskip(SKIP_4) | instid1(SALU_CYCLE_1)
	v_lshl_add_u32 v2, s3, 7, v1
	s_mov_b32 s3, exec_lo
	s_wait_kmcnt 0x0
	s_ashr_i32 s5, s8, 31
	s_mov_b32 s4, s8
	v_cmpx_gt_i64_e64 s[4:5], v[2:3]
	s_cbranch_execz .LBB145_12
; %bb.1:
	s_load_b32 s8, s[0:1], 0x50
	s_bfe_u32 s3, ttmp6, 0x40014
	v_lshrrev_b32_e32 v0, 8, v0
	s_lshr_b32 s4, ttmp7, 16
	s_add_co_i32 s3, s3, 1
	s_bfe_u32 s5, ttmp6, 0x40008
	s_mul_i32 s3, s4, s3
	v_and_b32_e32 v0, 0xffc, v0
	s_add_co_i32 s5, s5, s3
	s_cmp_eq_u32 s2, 0
	s_cselect_b32 s2, s4, s5
	s_delay_alu instid0(VALU_DEP_1) | instid1(SALU_CYCLE_1)
	v_lshl_add_u32 v0, s2, 5, v0
	s_wait_kmcnt 0x0
	s_delay_alu instid0(VALU_DEP_1)
	v_cmp_gt_u32_e32 vcc_lo, s8, v0
	s_and_b32 exec_lo, exec_lo, vcc_lo
	s_cbranch_execz .LBB145_12
; %bb.2:
	s_clause 0x1
	s_load_b32 s2, s[0:1], 0x20
	s_load_b96 s[16:18], s[0:1], 0x38
	v_mov_b32_e32 v1, 0
	s_wait_kmcnt 0x0
	s_ashr_i32 s3, s2, 31
	s_ashr_i32 s5, s18, 31
	s_mov_b32 s4, s18
	v_mul_u64_e32 v[4:5], s[2:3], v[2:3]
	v_mul_u64_e32 v[6:7], s[4:5], v[2:3]
	s_clause 0x3
	s_load_b128 s[12:15], s[0:1], 0x10
	s_load_b128 s[4:7], s[0:1], 0x28
	s_load_b32 s18, s[0:1], 0x60
	s_load_b64 s[2:3], s[0:1], 0x48
	s_cmp_neq_f16 s9, 0
	s_wait_xcnt 0x0
	s_cvt_f32_f16 s1, s9
	s_cselect_b32 s0, -1, 0
	s_wait_kmcnt 0x0
	s_lshl_b64 s[10:11], s[14:15], 1
	s_lshl_b64 s[14:15], s[16:17], 1
	s_add_nc_u64 s[10:11], s[12:13], s[10:11]
	s_add_nc_u64 s[6:7], s[6:7], s[14:15]
	s_delay_alu instid0(VALU_DEP_2) | instskip(NEXT) | instid1(VALU_DEP_2)
	v_lshl_add_u64 v[2:3], v[4:5], 1, s[10:11]
	v_lshl_add_u64 v[4:5], v[6:7], 1, s[6:7]
	s_mov_b32 s6, 0
	s_lshl_b32 s7, s18, 5
	s_branch .LBB145_4
.LBB145_3:                              ;   in Loop: Header=BB145_4 Depth=1
	s_wait_xcnt 0x0
	s_or_b32 exec_lo, exec_lo, s9
	v_add_nc_u32_e32 v0, s7, v0
	s_delay_alu instid0(VALU_DEP_1) | instskip(SKIP_1) | instid1(SALU_CYCLE_1)
	v_cmp_le_u32_e32 vcc_lo, s8, v0
	s_or_b32 s6, vcc_lo, s6
	s_and_not1_b32 exec_lo, exec_lo, s6
	s_cbranch_execz .LBB145_12
.LBB145_4:                              ; =>This Inner Loop Header: Depth=1
	s_and_not1_b32 vcc_lo, exec_lo, s0
	s_cbranch_vccnz .LBB145_6
; %bb.5:                                ;   in Loop: Header=BB145_4 Depth=1
	v_mul_u64_e32 v[6:7], s[2:3], v[0:1]
	v_mul_u64_e32 v[8:9], s[4:5], v[0:1]
	s_delay_alu instid0(VALU_DEP_2) | instskip(NEXT) | instid1(VALU_DEP_2)
	v_lshl_add_u64 v[6:7], v[6:7], 1, v[4:5]
	v_lshl_add_u64 v[8:9], v[8:9], 1, v[2:3]
	global_load_u16 v10, v[6:7], off
	global_load_u16 v11, v[8:9], off
	s_wait_loadcnt 0x0
	s_wait_xcnt 0x0
	v_fma_mixlo_f16 v8, s1, v11, v10 op_sel_hi:[0,1,1]
	global_store_b16 v[6:7], v8, off
.LBB145_6:                              ;   in Loop: Header=BB145_4 Depth=1
	s_wait_xcnt 0x0
	v_add_nc_u32_e32 v6, 1, v0
	s_delay_alu instid0(VALU_DEP_1) | instskip(SKIP_1) | instid1(SALU_CYCLE_1)
	v_cmp_gt_u32_e32 vcc_lo, s8, v6
	s_and_b32 s10, s0, vcc_lo
	s_and_saveexec_b32 s9, s10
	s_cbranch_execz .LBB145_8
; %bb.7:                                ;   in Loop: Header=BB145_4 Depth=1
	v_mov_b32_e32 v7, v1
	s_delay_alu instid0(VALU_DEP_1) | instskip(SKIP_1) | instid1(VALU_DEP_2)
	v_mul_u64_e32 v[8:9], s[2:3], v[6:7]
	v_mul_u64_e32 v[6:7], s[4:5], v[6:7]
	v_lshl_add_u64 v[8:9], v[8:9], 1, v[4:5]
	s_delay_alu instid0(VALU_DEP_2)
	v_lshl_add_u64 v[6:7], v[6:7], 1, v[2:3]
	global_load_u16 v10, v[8:9], off
	global_load_u16 v11, v[6:7], off
	s_wait_loadcnt 0x0
	v_fma_mixlo_f16 v6, s1, v11, v10 op_sel_hi:[0,1,1]
	global_store_b16 v[8:9], v6, off
.LBB145_8:                              ;   in Loop: Header=BB145_4 Depth=1
	s_wait_xcnt 0x0
	s_or_b32 exec_lo, exec_lo, s9
	v_add_nc_u32_e32 v6, 2, v0
	s_delay_alu instid0(VALU_DEP_1) | instskip(SKIP_1) | instid1(SALU_CYCLE_1)
	v_cmp_gt_u32_e32 vcc_lo, s8, v6
	s_and_b32 s10, s0, vcc_lo
	s_and_saveexec_b32 s9, s10
	s_cbranch_execz .LBB145_10
; %bb.9:                                ;   in Loop: Header=BB145_4 Depth=1
	v_mov_b32_e32 v7, v1
	s_delay_alu instid0(VALU_DEP_1) | instskip(SKIP_1) | instid1(VALU_DEP_2)
	v_mul_u64_e32 v[8:9], s[2:3], v[6:7]
	v_mul_u64_e32 v[6:7], s[4:5], v[6:7]
	v_lshl_add_u64 v[8:9], v[8:9], 1, v[4:5]
	s_delay_alu instid0(VALU_DEP_2)
	v_lshl_add_u64 v[6:7], v[6:7], 1, v[2:3]
	global_load_u16 v10, v[8:9], off
	global_load_u16 v11, v[6:7], off
	s_wait_loadcnt 0x0
	v_fma_mixlo_f16 v6, s1, v11, v10 op_sel_hi:[0,1,1]
	global_store_b16 v[8:9], v6, off
.LBB145_10:                             ;   in Loop: Header=BB145_4 Depth=1
	s_wait_xcnt 0x0
	s_or_b32 exec_lo, exec_lo, s9
	v_add_nc_u32_e32 v6, 3, v0
	s_delay_alu instid0(VALU_DEP_1) | instskip(SKIP_1) | instid1(SALU_CYCLE_1)
	v_cmp_gt_u32_e32 vcc_lo, s8, v6
	s_and_b32 s10, s0, vcc_lo
	s_and_saveexec_b32 s9, s10
	s_cbranch_execz .LBB145_3
; %bb.11:                               ;   in Loop: Header=BB145_4 Depth=1
	v_mov_b32_e32 v7, v1
	s_delay_alu instid0(VALU_DEP_1) | instskip(SKIP_1) | instid1(VALU_DEP_2)
	v_mul_u64_e32 v[8:9], s[2:3], v[6:7]
	v_mul_u64_e32 v[6:7], s[4:5], v[6:7]
	v_lshl_add_u64 v[8:9], v[8:9], 1, v[4:5]
	s_delay_alu instid0(VALU_DEP_2)
	v_lshl_add_u64 v[6:7], v[6:7], 1, v[2:3]
	global_load_u16 v10, v[8:9], off
	global_load_u16 v11, v[6:7], off
	s_wait_loadcnt 0x0
	v_fma_mixlo_f16 v6, s1, v11, v10 op_sel_hi:[0,1,1]
	global_store_b16 v[8:9], v6, off
	s_branch .LBB145_3
.LBB145_12:
	s_endpgm
	.section	.rodata,"a",@progbits
	.p2align	6, 0x0
	.amdhsa_kernel _ZL27rocblas_axpy_kernel_batchedIiLi128ELi8EfDF16_PKDF16_PDF16_EviT3_lT4_lT_lT5_lS5_li
		.amdhsa_group_segment_fixed_size 0
		.amdhsa_private_segment_fixed_size 0
		.amdhsa_kernarg_size 344
		.amdhsa_user_sgpr_count 2
		.amdhsa_user_sgpr_dispatch_ptr 0
		.amdhsa_user_sgpr_queue_ptr 0
		.amdhsa_user_sgpr_kernarg_segment_ptr 1
		.amdhsa_user_sgpr_dispatch_id 0
		.amdhsa_user_sgpr_kernarg_preload_length 0
		.amdhsa_user_sgpr_kernarg_preload_offset 0
		.amdhsa_user_sgpr_private_segment_size 0
		.amdhsa_wavefront_size32 1
		.amdhsa_uses_dynamic_stack 0
		.amdhsa_enable_private_segment 0
		.amdhsa_system_sgpr_workgroup_id_x 1
		.amdhsa_system_sgpr_workgroup_id_y 0
		.amdhsa_system_sgpr_workgroup_id_z 1
		.amdhsa_system_sgpr_workgroup_info 0
		.amdhsa_system_vgpr_workitem_id 1
		.amdhsa_next_free_vgpr 12
		.amdhsa_next_free_sgpr 19
		.amdhsa_named_barrier_count 0
		.amdhsa_reserve_vcc 1
		.amdhsa_float_round_mode_32 0
		.amdhsa_float_round_mode_16_64 0
		.amdhsa_float_denorm_mode_32 3
		.amdhsa_float_denorm_mode_16_64 3
		.amdhsa_fp16_overflow 0
		.amdhsa_memory_ordered 1
		.amdhsa_forward_progress 1
		.amdhsa_inst_pref_size 7
		.amdhsa_round_robin_scheduling 0
		.amdhsa_exception_fp_ieee_invalid_op 0
		.amdhsa_exception_fp_denorm_src 0
		.amdhsa_exception_fp_ieee_div_zero 0
		.amdhsa_exception_fp_ieee_overflow 0
		.amdhsa_exception_fp_ieee_underflow 0
		.amdhsa_exception_fp_ieee_inexact 0
		.amdhsa_exception_int_div_zero 0
	.end_amdhsa_kernel
	.section	.text._ZL27rocblas_axpy_kernel_batchedIiLi128ELi8EfDF16_PKDF16_PDF16_EviT3_lT4_lT_lT5_lS5_li,"axG",@progbits,_ZL27rocblas_axpy_kernel_batchedIiLi128ELi8EfDF16_PKDF16_PDF16_EviT3_lT4_lT_lT5_lS5_li,comdat
.Lfunc_end145:
	.size	_ZL27rocblas_axpy_kernel_batchedIiLi128ELi8EfDF16_PKDF16_PDF16_EviT3_lT4_lT_lT5_lS5_li, .Lfunc_end145-_ZL27rocblas_axpy_kernel_batchedIiLi128ELi8EfDF16_PKDF16_PDF16_EviT3_lT4_lT_lT5_lS5_li
                                        ; -- End function
	.set _ZL27rocblas_axpy_kernel_batchedIiLi128ELi8EfDF16_PKDF16_PDF16_EviT3_lT4_lT_lT5_lS5_li.num_vgpr, 12
	.set _ZL27rocblas_axpy_kernel_batchedIiLi128ELi8EfDF16_PKDF16_PDF16_EviT3_lT4_lT_lT5_lS5_li.num_agpr, 0
	.set _ZL27rocblas_axpy_kernel_batchedIiLi128ELi8EfDF16_PKDF16_PDF16_EviT3_lT4_lT_lT5_lS5_li.numbered_sgpr, 19
	.set _ZL27rocblas_axpy_kernel_batchedIiLi128ELi8EfDF16_PKDF16_PDF16_EviT3_lT4_lT_lT5_lS5_li.num_named_barrier, 0
	.set _ZL27rocblas_axpy_kernel_batchedIiLi128ELi8EfDF16_PKDF16_PDF16_EviT3_lT4_lT_lT5_lS5_li.private_seg_size, 0
	.set _ZL27rocblas_axpy_kernel_batchedIiLi128ELi8EfDF16_PKDF16_PDF16_EviT3_lT4_lT_lT5_lS5_li.uses_vcc, 1
	.set _ZL27rocblas_axpy_kernel_batchedIiLi128ELi8EfDF16_PKDF16_PDF16_EviT3_lT4_lT_lT5_lS5_li.uses_flat_scratch, 0
	.set _ZL27rocblas_axpy_kernel_batchedIiLi128ELi8EfDF16_PKDF16_PDF16_EviT3_lT4_lT_lT5_lS5_li.has_dyn_sized_stack, 0
	.set _ZL27rocblas_axpy_kernel_batchedIiLi128ELi8EfDF16_PKDF16_PDF16_EviT3_lT4_lT_lT5_lS5_li.has_recursion, 0
	.set _ZL27rocblas_axpy_kernel_batchedIiLi128ELi8EfDF16_PKDF16_PDF16_EviT3_lT4_lT_lT5_lS5_li.has_indirect_call, 0
	.section	.AMDGPU.csdata,"",@progbits
; Kernel info:
; codeLenInByte = 812
; TotalNumSgprs: 21
; NumVgprs: 12
; ScratchSize: 0
; MemoryBound: 0
; FloatMode: 240
; IeeeMode: 1
; LDSByteSize: 0 bytes/workgroup (compile time only)
; SGPRBlocks: 0
; VGPRBlocks: 0
; NumSGPRsForWavesPerEU: 21
; NumVGPRsForWavesPerEU: 12
; NamedBarCnt: 0
; Occupancy: 16
; WaveLimiterHint : 0
; COMPUTE_PGM_RSRC2:SCRATCH_EN: 0
; COMPUTE_PGM_RSRC2:USER_SGPR: 2
; COMPUTE_PGM_RSRC2:TRAP_HANDLER: 0
; COMPUTE_PGM_RSRC2:TGID_X_EN: 1
; COMPUTE_PGM_RSRC2:TGID_Y_EN: 0
; COMPUTE_PGM_RSRC2:TGID_Z_EN: 1
; COMPUTE_PGM_RSRC2:TIDIG_COMP_CNT: 1
	.section	.text._ZL19rocblas_axpy_kernelIiLi256EfPKDF16_S1_PDF16_EviT2_lT3_lT_lT4_lS5_li,"axG",@progbits,_ZL19rocblas_axpy_kernelIiLi256EfPKDF16_S1_PDF16_EviT2_lT3_lT_lT4_lS5_li,comdat
	.globl	_ZL19rocblas_axpy_kernelIiLi256EfPKDF16_S1_PDF16_EviT2_lT3_lT_lT4_lS5_li ; -- Begin function _ZL19rocblas_axpy_kernelIiLi256EfPKDF16_S1_PDF16_EviT2_lT3_lT_lT4_lS5_li
	.p2align	8
	.type	_ZL19rocblas_axpy_kernelIiLi256EfPKDF16_S1_PDF16_EviT2_lT3_lT_lT4_lS5_li,@function
_ZL19rocblas_axpy_kernelIiLi256EfPKDF16_S1_PDF16_EviT2_lT3_lT_lT4_lS5_li: ; @_ZL19rocblas_axpy_kernelIiLi256EfPKDF16_S1_PDF16_EviT2_lT3_lT_lT4_lS5_li
; %bb.0:
	s_load_b32 s18, s[0:1], 0x58
	s_bfe_u32 s2, ttmp6, 0x40014
	s_lshr_b32 s3, ttmp7, 16
	s_add_co_i32 s2, s2, 1
	s_bfe_u32 s4, ttmp6, 0x40008
	s_mul_i32 s2, s3, s2
	s_getreg_b32 s12, hwreg(HW_REG_IB_STS2, 6, 4)
	s_add_co_i32 s4, s4, s2
	s_cmp_eq_u32 s12, 0
	s_cselect_b32 s2, s3, s4
	s_mov_b32 s3, 0
	s_wait_kmcnt 0x0
	s_cmp_ge_u32 s2, s18
	s_cbranch_scc1 .LBB146_5
; %bb.1:
	s_clause 0x3
	s_load_b32 s24, s[0:1], 0x0
	s_load_b32 s14, s[0:1], 0x28
	s_load_b96 s[20:22], s[0:1], 0x40
	s_load_b256 s[4:11], s[0:1], 0x8
	s_bfe_u32 s13, ttmp6, 0x4000c
	s_and_b32 s15, ttmp6, 15
	s_add_co_i32 s13, s13, 1
	v_mov_b32_e32 v1, 0
	s_mul_i32 s13, ttmp9, s13
	s_load_b64 s[16:17], s[0:1], 0x50
	s_add_co_i32 s19, s15, s13
	s_wait_kmcnt 0x0
	s_ashr_i32 s25, s24, 31
	s_ashr_i32 s15, s14, 31
	;; [unrolled: 1-line block ×3, first 2 shown]
	s_lshl_b64 s[20:21], s[20:21], 1
	s_lshl_b64 s[10:11], s[10:11], 1
	s_cmp_eq_u32 s12, 0
	s_add_nc_u64 s[8:9], s[8:9], s[10:11]
	s_cselect_b32 s12, ttmp9, s19
	s_delay_alu instid0(SALU_CYCLE_1) | instskip(SKIP_1) | instid1(VALU_DEP_1)
	v_lshl_or_b32 v0, s12, 8, v0
	s_mov_b32 s12, s22
	v_mul_u64_e32 v[2:3], s[14:15], v[0:1]
	v_mul_u64_e32 v[4:5], s[12:13], v[0:1]
	s_load_b128 s[12:15], s[0:1], 0x30
	v_cmp_gt_i64_e32 vcc_lo, s[24:25], v[0:1]
	s_wait_kmcnt 0x0
	s_add_nc_u64 s[0:1], s[14:15], s[20:21]
	s_delay_alu instid0(VALU_DEP_3) | instskip(NEXT) | instid1(VALU_DEP_3)
	v_lshl_add_u64 v[2:3], v[2:3], 1, s[8:9]
	v_lshl_add_u64 v[4:5], v[4:5], 1, s[0:1]
	s_branch .LBB146_3
.LBB146_2:                              ;   in Loop: Header=BB146_3 Depth=1
	s_wait_xcnt 0x0
	s_or_b32 exec_lo, exec_lo, s0
	s_add_co_i32 s2, s2, 0x10000
	s_delay_alu instid0(SALU_CYCLE_1)
	s_cmp_lt_u32 s2, s18
	s_cbranch_scc0 .LBB146_5
.LBB146_3:                              ; =>This Inner Loop Header: Depth=1
	s_mul_u64 s[0:1], s[6:7], s[2:3]
	s_delay_alu instid0(SALU_CYCLE_1) | instskip(NEXT) | instid1(SALU_CYCLE_1)
	s_lshl_b64 s[0:1], s[0:1], 1
	s_add_nc_u64 s[0:1], s[4:5], s[0:1]
	global_load_u16 v0, v1, s[0:1]
	s_wait_loadcnt 0x0
	s_wait_xcnt 0x0
	v_readfirstlane_b32 s0, v0
	s_cmp_neq_f16 s0, 0
	s_cselect_b32 s0, -1, 0
	s_delay_alu instid0(SALU_CYCLE_1) | instskip(NEXT) | instid1(SALU_CYCLE_1)
	s_and_b32 s1, vcc_lo, s0
	s_and_saveexec_b32 s0, s1
	s_cbranch_execz .LBB146_2
; %bb.4:                                ;   in Loop: Header=BB146_3 Depth=1
	s_mul_u64 s[8:9], s[16:17], s[2:3]
	s_mul_u64 s[10:11], s[12:13], s[2:3]
	v_lshl_add_u64 v[6:7], s[8:9], 1, v[4:5]
	v_lshl_add_u64 v[8:9], s[10:11], 1, v[2:3]
	global_load_u16 v10, v[6:7], off
	global_load_u16 v11, v[8:9], off
	s_wait_loadcnt 0x0
	v_fma_mixlo_f16 v0, v0, v11, v10 op_sel_hi:[1,1,1]
	global_store_b16 v[6:7], v0, off
	s_branch .LBB146_2
.LBB146_5:
	s_endpgm
	.section	.rodata,"a",@progbits
	.p2align	6, 0x0
	.amdhsa_kernel _ZL19rocblas_axpy_kernelIiLi256EfPKDF16_S1_PDF16_EviT2_lT3_lT_lT4_lS5_li
		.amdhsa_group_segment_fixed_size 0
		.amdhsa_private_segment_fixed_size 0
		.amdhsa_kernarg_size 92
		.amdhsa_user_sgpr_count 2
		.amdhsa_user_sgpr_dispatch_ptr 0
		.amdhsa_user_sgpr_queue_ptr 0
		.amdhsa_user_sgpr_kernarg_segment_ptr 1
		.amdhsa_user_sgpr_dispatch_id 0
		.amdhsa_user_sgpr_kernarg_preload_length 0
		.amdhsa_user_sgpr_kernarg_preload_offset 0
		.amdhsa_user_sgpr_private_segment_size 0
		.amdhsa_wavefront_size32 1
		.amdhsa_uses_dynamic_stack 0
		.amdhsa_enable_private_segment 0
		.amdhsa_system_sgpr_workgroup_id_x 1
		.amdhsa_system_sgpr_workgroup_id_y 0
		.amdhsa_system_sgpr_workgroup_id_z 1
		.amdhsa_system_sgpr_workgroup_info 0
		.amdhsa_system_vgpr_workitem_id 0
		.amdhsa_next_free_vgpr 12
		.amdhsa_next_free_sgpr 26
		.amdhsa_named_barrier_count 0
		.amdhsa_reserve_vcc 1
		.amdhsa_float_round_mode_32 0
		.amdhsa_float_round_mode_16_64 0
		.amdhsa_float_denorm_mode_32 3
		.amdhsa_float_denorm_mode_16_64 3
		.amdhsa_fp16_overflow 0
		.amdhsa_memory_ordered 1
		.amdhsa_forward_progress 1
		.amdhsa_inst_pref_size 4
		.amdhsa_round_robin_scheduling 0
		.amdhsa_exception_fp_ieee_invalid_op 0
		.amdhsa_exception_fp_denorm_src 0
		.amdhsa_exception_fp_ieee_div_zero 0
		.amdhsa_exception_fp_ieee_overflow 0
		.amdhsa_exception_fp_ieee_underflow 0
		.amdhsa_exception_fp_ieee_inexact 0
		.amdhsa_exception_int_div_zero 0
	.end_amdhsa_kernel
	.section	.text._ZL19rocblas_axpy_kernelIiLi256EfPKDF16_S1_PDF16_EviT2_lT3_lT_lT4_lS5_li,"axG",@progbits,_ZL19rocblas_axpy_kernelIiLi256EfPKDF16_S1_PDF16_EviT2_lT3_lT_lT4_lS5_li,comdat
.Lfunc_end146:
	.size	_ZL19rocblas_axpy_kernelIiLi256EfPKDF16_S1_PDF16_EviT2_lT3_lT_lT4_lS5_li, .Lfunc_end146-_ZL19rocblas_axpy_kernelIiLi256EfPKDF16_S1_PDF16_EviT2_lT3_lT_lT4_lS5_li
                                        ; -- End function
	.set _ZL19rocblas_axpy_kernelIiLi256EfPKDF16_S1_PDF16_EviT2_lT3_lT_lT4_lS5_li.num_vgpr, 12
	.set _ZL19rocblas_axpy_kernelIiLi256EfPKDF16_S1_PDF16_EviT2_lT3_lT_lT4_lS5_li.num_agpr, 0
	.set _ZL19rocblas_axpy_kernelIiLi256EfPKDF16_S1_PDF16_EviT2_lT3_lT_lT4_lS5_li.numbered_sgpr, 26
	.set _ZL19rocblas_axpy_kernelIiLi256EfPKDF16_S1_PDF16_EviT2_lT3_lT_lT4_lS5_li.num_named_barrier, 0
	.set _ZL19rocblas_axpy_kernelIiLi256EfPKDF16_S1_PDF16_EviT2_lT3_lT_lT4_lS5_li.private_seg_size, 0
	.set _ZL19rocblas_axpy_kernelIiLi256EfPKDF16_S1_PDF16_EviT2_lT3_lT_lT4_lS5_li.uses_vcc, 1
	.set _ZL19rocblas_axpy_kernelIiLi256EfPKDF16_S1_PDF16_EviT2_lT3_lT_lT4_lS5_li.uses_flat_scratch, 0
	.set _ZL19rocblas_axpy_kernelIiLi256EfPKDF16_S1_PDF16_EviT2_lT3_lT_lT4_lS5_li.has_dyn_sized_stack, 0
	.set _ZL19rocblas_axpy_kernelIiLi256EfPKDF16_S1_PDF16_EviT2_lT3_lT_lT4_lS5_li.has_recursion, 0
	.set _ZL19rocblas_axpy_kernelIiLi256EfPKDF16_S1_PDF16_EviT2_lT3_lT_lT4_lS5_li.has_indirect_call, 0
	.section	.AMDGPU.csdata,"",@progbits
; Kernel info:
; codeLenInByte = 416
; TotalNumSgprs: 28
; NumVgprs: 12
; ScratchSize: 0
; MemoryBound: 0
; FloatMode: 240
; IeeeMode: 1
; LDSByteSize: 0 bytes/workgroup (compile time only)
; SGPRBlocks: 0
; VGPRBlocks: 0
; NumSGPRsForWavesPerEU: 28
; NumVGPRsForWavesPerEU: 12
; NamedBarCnt: 0
; Occupancy: 16
; WaveLimiterHint : 0
; COMPUTE_PGM_RSRC2:SCRATCH_EN: 0
; COMPUTE_PGM_RSRC2:USER_SGPR: 2
; COMPUTE_PGM_RSRC2:TRAP_HANDLER: 0
; COMPUTE_PGM_RSRC2:TGID_X_EN: 1
; COMPUTE_PGM_RSRC2:TGID_Y_EN: 0
; COMPUTE_PGM_RSRC2:TGID_Z_EN: 1
; COMPUTE_PGM_RSRC2:TIDIG_COMP_CNT: 0
	.section	.text._ZL19rocblas_axpy_kernelIiLi256EfDF16_PKDF16_PDF16_EviT2_lT3_lT_lT4_lS5_li,"axG",@progbits,_ZL19rocblas_axpy_kernelIiLi256EfDF16_PKDF16_PDF16_EviT2_lT3_lT_lT4_lS5_li,comdat
	.globl	_ZL19rocblas_axpy_kernelIiLi256EfDF16_PKDF16_PDF16_EviT2_lT3_lT_lT4_lS5_li ; -- Begin function _ZL19rocblas_axpy_kernelIiLi256EfDF16_PKDF16_PDF16_EviT2_lT3_lT_lT4_lS5_li
	.p2align	8
	.type	_ZL19rocblas_axpy_kernelIiLi256EfDF16_PKDF16_PDF16_EviT2_lT3_lT_lT4_lS5_li,@function
_ZL19rocblas_axpy_kernelIiLi256EfDF16_PKDF16_PDF16_EviT2_lT3_lT_lT4_lS5_li: ; @_ZL19rocblas_axpy_kernelIiLi256EfDF16_PKDF16_PDF16_EviT2_lT3_lT_lT4_lS5_li
; %bb.0:
	s_load_b32 s8, s[0:1], 0x50
	s_bfe_u32 s2, ttmp6, 0x40014
	s_lshr_b32 s3, ttmp7, 16
	s_add_co_i32 s2, s2, 1
	s_bfe_u32 s5, ttmp6, 0x40008
	s_mul_i32 s4, s3, s2
	s_getreg_b32 s2, hwreg(HW_REG_IB_STS2, 6, 4)
	s_add_co_i32 s5, s5, s4
	s_cmp_eq_u32 s2, 0
	s_cselect_b32 s4, s3, s5
	s_mov_b32 s5, 0
	s_wait_kmcnt 0x0
	s_cmp_ge_u32 s4, s8
	s_cbranch_scc1 .LBB147_5
; %bb.1:
	s_clause 0x2
	s_load_b32 s10, s[0:1], 0x20
	s_load_b96 s[16:18], s[0:1], 0x38
	s_load_b128 s[12:15], s[0:1], 0x10
	s_bfe_u32 s3, ttmp6, 0x4000c
	s_and_b32 s9, ttmp6, 15
	s_add_co_i32 s3, s3, 1
	v_mov_b32_e32 v1, 0
	s_mul_i32 s3, ttmp9, s3
	s_clause 0x1
	s_load_b64 s[20:21], s[0:1], 0x0
	s_load_b64 s[6:7], s[0:1], 0x48
	s_add_co_i32 s9, s9, s3
	s_wait_kmcnt 0x0
	s_ashr_i32 s11, s10, 31
	s_ashr_i32 s3, s18, 31
	s_lshl_b64 s[16:17], s[16:17], 1
	s_lshl_b64 s[14:15], s[14:15], 1
	s_cmp_eq_u32 s2, 0
	s_cselect_b32 s2, ttmp9, s9
	s_delay_alu instid0(SALU_CYCLE_1) | instskip(SKIP_2) | instid1(VALU_DEP_1)
	v_lshl_or_b32 v0, s2, 8, v0
	s_mov_b32 s2, s18
	s_cmp_neq_f16 s21, 0
	v_mul_u64_e32 v[2:3], s[10:11], v[0:1]
	v_mul_u64_e32 v[4:5], s[2:3], v[0:1]
	s_load_b128 s[0:3], s[0:1], 0x28
	s_mov_b32 s10, s20
	s_cselect_b32 s9, -1, 0
	s_ashr_i32 s11, s20, 31
	s_delay_alu instid0(SALU_CYCLE_1) | instskip(SKIP_3) | instid1(VALU_DEP_3)
	v_cmp_gt_i64_e32 vcc_lo, s[10:11], v[0:1]
	s_add_nc_u64 s[10:11], s[12:13], s[14:15]
	s_wait_kmcnt 0x0
	s_add_nc_u64 s[2:3], s[2:3], s[16:17]
	v_lshl_add_u64 v[0:1], v[2:3], 1, s[10:11]
	s_delay_alu instid0(VALU_DEP_3)
	v_lshl_add_u64 v[2:3], v[4:5], 1, s[2:3]
	s_cvt_f32_f16 s2, s21
	s_and_b32 s3, s9, vcc_lo
	s_branch .LBB147_3
.LBB147_2:                              ;   in Loop: Header=BB147_3 Depth=1
	s_wait_xcnt 0x0
	s_or_b32 exec_lo, exec_lo, s9
	s_add_co_i32 s4, s4, 0x10000
	s_delay_alu instid0(SALU_CYCLE_1)
	s_cmp_lt_u32 s4, s8
	s_cbranch_scc0 .LBB147_5
.LBB147_3:                              ; =>This Inner Loop Header: Depth=1
	s_and_saveexec_b32 s9, s3
	s_cbranch_execz .LBB147_2
; %bb.4:                                ;   in Loop: Header=BB147_3 Depth=1
	s_mul_u64 s[10:11], s[6:7], s[4:5]
	s_mul_u64 s[12:13], s[0:1], s[4:5]
	v_lshl_add_u64 v[4:5], s[10:11], 1, v[2:3]
	v_lshl_add_u64 v[6:7], s[12:13], 1, v[0:1]
	global_load_u16 v8, v[4:5], off
	global_load_u16 v9, v[6:7], off
	s_wait_loadcnt 0x0
	s_wait_xcnt 0x0
	v_fma_mixlo_f16 v6, s2, v9, v8 op_sel_hi:[0,1,1]
	global_store_b16 v[4:5], v6, off
	s_branch .LBB147_2
.LBB147_5:
	s_endpgm
	.section	.rodata,"a",@progbits
	.p2align	6, 0x0
	.amdhsa_kernel _ZL19rocblas_axpy_kernelIiLi256EfDF16_PKDF16_PDF16_EviT2_lT3_lT_lT4_lS5_li
		.amdhsa_group_segment_fixed_size 0
		.amdhsa_private_segment_fixed_size 0
		.amdhsa_kernarg_size 84
		.amdhsa_user_sgpr_count 2
		.amdhsa_user_sgpr_dispatch_ptr 0
		.amdhsa_user_sgpr_queue_ptr 0
		.amdhsa_user_sgpr_kernarg_segment_ptr 1
		.amdhsa_user_sgpr_dispatch_id 0
		.amdhsa_user_sgpr_kernarg_preload_length 0
		.amdhsa_user_sgpr_kernarg_preload_offset 0
		.amdhsa_user_sgpr_private_segment_size 0
		.amdhsa_wavefront_size32 1
		.amdhsa_uses_dynamic_stack 0
		.amdhsa_enable_private_segment 0
		.amdhsa_system_sgpr_workgroup_id_x 1
		.amdhsa_system_sgpr_workgroup_id_y 0
		.amdhsa_system_sgpr_workgroup_id_z 1
		.amdhsa_system_sgpr_workgroup_info 0
		.amdhsa_system_vgpr_workitem_id 0
		.amdhsa_next_free_vgpr 10
		.amdhsa_next_free_sgpr 22
		.amdhsa_named_barrier_count 0
		.amdhsa_reserve_vcc 1
		.amdhsa_float_round_mode_32 0
		.amdhsa_float_round_mode_16_64 0
		.amdhsa_float_denorm_mode_32 3
		.amdhsa_float_denorm_mode_16_64 3
		.amdhsa_fp16_overflow 0
		.amdhsa_memory_ordered 1
		.amdhsa_forward_progress 1
		.amdhsa_inst_pref_size 4
		.amdhsa_round_robin_scheduling 0
		.amdhsa_exception_fp_ieee_invalid_op 0
		.amdhsa_exception_fp_denorm_src 0
		.amdhsa_exception_fp_ieee_div_zero 0
		.amdhsa_exception_fp_ieee_overflow 0
		.amdhsa_exception_fp_ieee_underflow 0
		.amdhsa_exception_fp_ieee_inexact 0
		.amdhsa_exception_int_div_zero 0
	.end_amdhsa_kernel
	.section	.text._ZL19rocblas_axpy_kernelIiLi256EfDF16_PKDF16_PDF16_EviT2_lT3_lT_lT4_lS5_li,"axG",@progbits,_ZL19rocblas_axpy_kernelIiLi256EfDF16_PKDF16_PDF16_EviT2_lT3_lT_lT4_lS5_li,comdat
.Lfunc_end147:
	.size	_ZL19rocblas_axpy_kernelIiLi256EfDF16_PKDF16_PDF16_EviT2_lT3_lT_lT4_lS5_li, .Lfunc_end147-_ZL19rocblas_axpy_kernelIiLi256EfDF16_PKDF16_PDF16_EviT2_lT3_lT_lT4_lS5_li
                                        ; -- End function
	.set _ZL19rocblas_axpy_kernelIiLi256EfDF16_PKDF16_PDF16_EviT2_lT3_lT_lT4_lS5_li.num_vgpr, 10
	.set _ZL19rocblas_axpy_kernelIiLi256EfDF16_PKDF16_PDF16_EviT2_lT3_lT_lT4_lS5_li.num_agpr, 0
	.set _ZL19rocblas_axpy_kernelIiLi256EfDF16_PKDF16_PDF16_EviT2_lT3_lT_lT4_lS5_li.numbered_sgpr, 22
	.set _ZL19rocblas_axpy_kernelIiLi256EfDF16_PKDF16_PDF16_EviT2_lT3_lT_lT4_lS5_li.num_named_barrier, 0
	.set _ZL19rocblas_axpy_kernelIiLi256EfDF16_PKDF16_PDF16_EviT2_lT3_lT_lT4_lS5_li.private_seg_size, 0
	.set _ZL19rocblas_axpy_kernelIiLi256EfDF16_PKDF16_PDF16_EviT2_lT3_lT_lT4_lS5_li.uses_vcc, 1
	.set _ZL19rocblas_axpy_kernelIiLi256EfDF16_PKDF16_PDF16_EviT2_lT3_lT_lT4_lS5_li.uses_flat_scratch, 0
	.set _ZL19rocblas_axpy_kernelIiLi256EfDF16_PKDF16_PDF16_EviT2_lT3_lT_lT4_lS5_li.has_dyn_sized_stack, 0
	.set _ZL19rocblas_axpy_kernelIiLi256EfDF16_PKDF16_PDF16_EviT2_lT3_lT_lT4_lS5_li.has_recursion, 0
	.set _ZL19rocblas_axpy_kernelIiLi256EfDF16_PKDF16_PDF16_EviT2_lT3_lT_lT4_lS5_li.has_indirect_call, 0
	.section	.AMDGPU.csdata,"",@progbits
; Kernel info:
; codeLenInByte = 392
; TotalNumSgprs: 24
; NumVgprs: 10
; ScratchSize: 0
; MemoryBound: 0
; FloatMode: 240
; IeeeMode: 1
; LDSByteSize: 0 bytes/workgroup (compile time only)
; SGPRBlocks: 0
; VGPRBlocks: 0
; NumSGPRsForWavesPerEU: 24
; NumVGPRsForWavesPerEU: 10
; NamedBarCnt: 0
; Occupancy: 16
; WaveLimiterHint : 0
; COMPUTE_PGM_RSRC2:SCRATCH_EN: 0
; COMPUTE_PGM_RSRC2:USER_SGPR: 2
; COMPUTE_PGM_RSRC2:TRAP_HANDLER: 0
; COMPUTE_PGM_RSRC2:TGID_X_EN: 1
; COMPUTE_PGM_RSRC2:TGID_Y_EN: 0
; COMPUTE_PGM_RSRC2:TGID_Z_EN: 1
; COMPUTE_PGM_RSRC2:TIDIG_COMP_CNT: 0
	.section	.text._ZL19rocblas_axpy_kernelIlLi256EfPKDF16_S1_PDF16_EviT2_lT3_lT_lT4_lS5_li,"axG",@progbits,_ZL19rocblas_axpy_kernelIlLi256EfPKDF16_S1_PDF16_EviT2_lT3_lT_lT4_lS5_li,comdat
	.globl	_ZL19rocblas_axpy_kernelIlLi256EfPKDF16_S1_PDF16_EviT2_lT3_lT_lT4_lS5_li ; -- Begin function _ZL19rocblas_axpy_kernelIlLi256EfPKDF16_S1_PDF16_EviT2_lT3_lT_lT4_lS5_li
	.p2align	8
	.type	_ZL19rocblas_axpy_kernelIlLi256EfPKDF16_S1_PDF16_EviT2_lT3_lT_lT4_lS5_li,@function
_ZL19rocblas_axpy_kernelIlLi256EfPKDF16_S1_PDF16_EviT2_lT3_lT_lT4_lS5_li: ; @_ZL19rocblas_axpy_kernelIlLi256EfPKDF16_S1_PDF16_EviT2_lT3_lT_lT4_lS5_li
; %bb.0:
	s_load_b32 s16, s[0:1], 0x58
	s_bfe_u32 s2, ttmp6, 0x40014
	s_lshr_b32 s3, ttmp7, 16
	s_add_co_i32 s2, s2, 1
	s_bfe_u32 s4, ttmp6, 0x40008
	s_mul_i32 s2, s3, s2
	s_getreg_b32 s17, hwreg(HW_REG_IB_STS2, 6, 4)
	s_add_co_i32 s4, s4, s2
	s_cmp_eq_u32 s17, 0
	s_cselect_b32 s2, s3, s4
	s_mov_b32 s3, 0
	s_wait_kmcnt 0x0
	s_cmp_ge_u32 s2, s16
	s_cbranch_scc1 .LBB148_5
; %bb.1:
	s_clause 0x2
	s_load_b32 s18, s[0:1], 0x0
	s_load_b256 s[4:11], s[0:1], 0x30
	s_load_b128 s[20:23], s[0:1], 0x20
	s_bfe_u32 s12, ttmp6, 0x4000c
	s_and_b32 s19, ttmp6, 15
	s_add_co_i32 s12, s12, 1
	v_mov_b32_e32 v1, 0
	s_mul_i32 s24, ttmp9, s12
	s_load_b128 s[12:15], s[0:1], 0x8
	s_add_co_i32 s26, s19, s24
	s_wait_kmcnt 0x0
	s_ashr_i32 s19, s18, 31
	s_lshl_b64 s[24:25], s[8:9], 1
	s_lshl_b64 s[20:21], s[20:21], 1
	s_cmp_eq_u32 s17, 0
	s_cselect_b32 s8, ttmp9, s26
	s_delay_alu instid0(SALU_CYCLE_1) | instskip(NEXT) | instid1(VALU_DEP_1)
	v_lshl_or_b32 v0, s8, 8, v0
	v_mul_u64_e32 v[2:3], s[22:23], v[0:1]
	v_mul_u64_e32 v[4:5], s[10:11], v[0:1]
	s_clause 0x1
	s_load_b64 s[10:11], s[0:1], 0x18
	s_load_b64 s[8:9], s[0:1], 0x50
	s_wait_xcnt 0x0
	s_add_nc_u64 s[0:1], s[6:7], s[24:25]
	v_cmp_gt_i64_e32 vcc_lo, s[18:19], v[0:1]
	s_wait_kmcnt 0x0
	s_add_nc_u64 s[6:7], s[10:11], s[20:21]
	s_delay_alu instid0(VALU_DEP_3) | instid1(SALU_CYCLE_1)
	v_lshl_add_u64 v[2:3], v[2:3], 1, s[6:7]
	s_delay_alu instid0(VALU_DEP_3)
	v_lshl_add_u64 v[4:5], v[4:5], 1, s[0:1]
	s_branch .LBB148_3
.LBB148_2:                              ;   in Loop: Header=BB148_3 Depth=1
	s_wait_xcnt 0x0
	s_or_b32 exec_lo, exec_lo, s0
	s_add_co_i32 s2, s2, 0x10000
	s_delay_alu instid0(SALU_CYCLE_1)
	s_cmp_lt_u32 s2, s16
	s_cbranch_scc0 .LBB148_5
.LBB148_3:                              ; =>This Inner Loop Header: Depth=1
	s_mul_u64 s[0:1], s[14:15], s[2:3]
	s_delay_alu instid0(SALU_CYCLE_1) | instskip(NEXT) | instid1(SALU_CYCLE_1)
	s_lshl_b64 s[0:1], s[0:1], 1
	s_add_nc_u64 s[0:1], s[12:13], s[0:1]
	global_load_u16 v0, v1, s[0:1]
	s_wait_loadcnt 0x0
	s_wait_xcnt 0x0
	v_readfirstlane_b32 s0, v0
	s_cmp_neq_f16 s0, 0
	s_cselect_b32 s0, -1, 0
	s_delay_alu instid0(SALU_CYCLE_1) | instskip(NEXT) | instid1(SALU_CYCLE_1)
	s_and_b32 s1, vcc_lo, s0
	s_and_saveexec_b32 s0, s1
	s_cbranch_execz .LBB148_2
; %bb.4:                                ;   in Loop: Header=BB148_3 Depth=1
	s_mul_u64 s[6:7], s[8:9], s[2:3]
	s_mul_u64 s[10:11], s[4:5], s[2:3]
	v_lshl_add_u64 v[6:7], s[6:7], 1, v[4:5]
	v_lshl_add_u64 v[8:9], s[10:11], 1, v[2:3]
	global_load_u16 v10, v[6:7], off
	global_load_u16 v11, v[8:9], off
	s_wait_loadcnt 0x0
	v_fma_mixlo_f16 v0, v0, v11, v10 op_sel_hi:[1,1,1]
	global_store_b16 v[6:7], v0, off
	s_branch .LBB148_2
.LBB148_5:
	s_endpgm
	.section	.rodata,"a",@progbits
	.p2align	6, 0x0
	.amdhsa_kernel _ZL19rocblas_axpy_kernelIlLi256EfPKDF16_S1_PDF16_EviT2_lT3_lT_lT4_lS5_li
		.amdhsa_group_segment_fixed_size 0
		.amdhsa_private_segment_fixed_size 0
		.amdhsa_kernarg_size 92
		.amdhsa_user_sgpr_count 2
		.amdhsa_user_sgpr_dispatch_ptr 0
		.amdhsa_user_sgpr_queue_ptr 0
		.amdhsa_user_sgpr_kernarg_segment_ptr 1
		.amdhsa_user_sgpr_dispatch_id 0
		.amdhsa_user_sgpr_kernarg_preload_length 0
		.amdhsa_user_sgpr_kernarg_preload_offset 0
		.amdhsa_user_sgpr_private_segment_size 0
		.amdhsa_wavefront_size32 1
		.amdhsa_uses_dynamic_stack 0
		.amdhsa_enable_private_segment 0
		.amdhsa_system_sgpr_workgroup_id_x 1
		.amdhsa_system_sgpr_workgroup_id_y 0
		.amdhsa_system_sgpr_workgroup_id_z 1
		.amdhsa_system_sgpr_workgroup_info 0
		.amdhsa_system_vgpr_workitem_id 0
		.amdhsa_next_free_vgpr 12
		.amdhsa_next_free_sgpr 27
		.amdhsa_named_barrier_count 0
		.amdhsa_reserve_vcc 1
		.amdhsa_float_round_mode_32 0
		.amdhsa_float_round_mode_16_64 0
		.amdhsa_float_denorm_mode_32 3
		.amdhsa_float_denorm_mode_16_64 3
		.amdhsa_fp16_overflow 0
		.amdhsa_memory_ordered 1
		.amdhsa_forward_progress 1
		.amdhsa_inst_pref_size 4
		.amdhsa_round_robin_scheduling 0
		.amdhsa_exception_fp_ieee_invalid_op 0
		.amdhsa_exception_fp_denorm_src 0
		.amdhsa_exception_fp_ieee_div_zero 0
		.amdhsa_exception_fp_ieee_overflow 0
		.amdhsa_exception_fp_ieee_underflow 0
		.amdhsa_exception_fp_ieee_inexact 0
		.amdhsa_exception_int_div_zero 0
	.end_amdhsa_kernel
	.section	.text._ZL19rocblas_axpy_kernelIlLi256EfPKDF16_S1_PDF16_EviT2_lT3_lT_lT4_lS5_li,"axG",@progbits,_ZL19rocblas_axpy_kernelIlLi256EfPKDF16_S1_PDF16_EviT2_lT3_lT_lT4_lS5_li,comdat
.Lfunc_end148:
	.size	_ZL19rocblas_axpy_kernelIlLi256EfPKDF16_S1_PDF16_EviT2_lT3_lT_lT4_lS5_li, .Lfunc_end148-_ZL19rocblas_axpy_kernelIlLi256EfPKDF16_S1_PDF16_EviT2_lT3_lT_lT4_lS5_li
                                        ; -- End function
	.set _ZL19rocblas_axpy_kernelIlLi256EfPKDF16_S1_PDF16_EviT2_lT3_lT_lT4_lS5_li.num_vgpr, 12
	.set _ZL19rocblas_axpy_kernelIlLi256EfPKDF16_S1_PDF16_EviT2_lT3_lT_lT4_lS5_li.num_agpr, 0
	.set _ZL19rocblas_axpy_kernelIlLi256EfPKDF16_S1_PDF16_EviT2_lT3_lT_lT4_lS5_li.numbered_sgpr, 27
	.set _ZL19rocblas_axpy_kernelIlLi256EfPKDF16_S1_PDF16_EviT2_lT3_lT_lT4_lS5_li.num_named_barrier, 0
	.set _ZL19rocblas_axpy_kernelIlLi256EfPKDF16_S1_PDF16_EviT2_lT3_lT_lT4_lS5_li.private_seg_size, 0
	.set _ZL19rocblas_axpy_kernelIlLi256EfPKDF16_S1_PDF16_EviT2_lT3_lT_lT4_lS5_li.uses_vcc, 1
	.set _ZL19rocblas_axpy_kernelIlLi256EfPKDF16_S1_PDF16_EviT2_lT3_lT_lT4_lS5_li.uses_flat_scratch, 0
	.set _ZL19rocblas_axpy_kernelIlLi256EfPKDF16_S1_PDF16_EviT2_lT3_lT_lT4_lS5_li.has_dyn_sized_stack, 0
	.set _ZL19rocblas_axpy_kernelIlLi256EfPKDF16_S1_PDF16_EviT2_lT3_lT_lT4_lS5_li.has_recursion, 0
	.set _ZL19rocblas_axpy_kernelIlLi256EfPKDF16_S1_PDF16_EviT2_lT3_lT_lT4_lS5_li.has_indirect_call, 0
	.section	.AMDGPU.csdata,"",@progbits
; Kernel info:
; codeLenInByte = 416
; TotalNumSgprs: 29
; NumVgprs: 12
; ScratchSize: 0
; MemoryBound: 0
; FloatMode: 240
; IeeeMode: 1
; LDSByteSize: 0 bytes/workgroup (compile time only)
; SGPRBlocks: 0
; VGPRBlocks: 0
; NumSGPRsForWavesPerEU: 29
; NumVGPRsForWavesPerEU: 12
; NamedBarCnt: 0
; Occupancy: 16
; WaveLimiterHint : 0
; COMPUTE_PGM_RSRC2:SCRATCH_EN: 0
; COMPUTE_PGM_RSRC2:USER_SGPR: 2
; COMPUTE_PGM_RSRC2:TRAP_HANDLER: 0
; COMPUTE_PGM_RSRC2:TGID_X_EN: 1
; COMPUTE_PGM_RSRC2:TGID_Y_EN: 0
; COMPUTE_PGM_RSRC2:TGID_Z_EN: 1
; COMPUTE_PGM_RSRC2:TIDIG_COMP_CNT: 0
	.section	.text._ZL19rocblas_axpy_kernelIlLi256EfDF16_PKDF16_PDF16_EviT2_lT3_lT_lT4_lS5_li,"axG",@progbits,_ZL19rocblas_axpy_kernelIlLi256EfDF16_PKDF16_PDF16_EviT2_lT3_lT_lT4_lS5_li,comdat
	.globl	_ZL19rocblas_axpy_kernelIlLi256EfDF16_PKDF16_PDF16_EviT2_lT3_lT_lT4_lS5_li ; -- Begin function _ZL19rocblas_axpy_kernelIlLi256EfDF16_PKDF16_PDF16_EviT2_lT3_lT_lT4_lS5_li
	.p2align	8
	.type	_ZL19rocblas_axpy_kernelIlLi256EfDF16_PKDF16_PDF16_EviT2_lT3_lT_lT4_lS5_li,@function
_ZL19rocblas_axpy_kernelIlLi256EfDF16_PKDF16_PDF16_EviT2_lT3_lT_lT4_lS5_li: ; @_ZL19rocblas_axpy_kernelIlLi256EfDF16_PKDF16_PDF16_EviT2_lT3_lT_lT4_lS5_li
; %bb.0:
	s_load_b32 s12, s[0:1], 0x50
	s_bfe_u32 s2, ttmp6, 0x40014
	s_lshr_b32 s3, ttmp7, 16
	s_add_co_i32 s2, s2, 1
	s_bfe_u32 s4, ttmp6, 0x40008
	s_mul_i32 s2, s3, s2
	s_getreg_b32 s13, hwreg(HW_REG_IB_STS2, 6, 4)
	s_add_co_i32 s4, s4, s2
	s_cmp_eq_u32 s13, 0
	s_cselect_b32 s2, s3, s4
	s_mov_b32 s3, 0
	s_wait_kmcnt 0x0
	s_cmp_ge_u32 s2, s12
	s_cbranch_scc1 .LBB149_5
; %bb.1:
	s_clause 0x1
	s_load_b256 s[4:11], s[0:1], 0x28
	s_load_b128 s[16:19], s[0:1], 0x18
	s_bfe_u32 s14, ttmp6, 0x4000c
	s_and_b32 s15, ttmp6, 15
	s_add_co_i32 s14, s14, 1
	v_mov_b32_e32 v1, 0
	s_mul_i32 s14, ttmp9, s14
	s_delay_alu instid0(SALU_CYCLE_1)
	s_add_co_i32 s20, s15, s14
	s_wait_kmcnt 0x0
	s_lshl_b64 s[14:15], s[8:9], 1
	s_lshl_b64 s[16:17], s[16:17], 1
	s_cmp_eq_u32 s13, 0
	s_add_nc_u64 s[6:7], s[6:7], s[14:15]
	s_cselect_b32 s8, ttmp9, s20
	s_delay_alu instid0(SALU_CYCLE_1) | instskip(NEXT) | instid1(VALU_DEP_1)
	v_lshl_or_b32 v0, s8, 8, v0
	v_mul_u64_e32 v[2:3], s[18:19], v[0:1]
	v_mul_u64_e32 v[4:5], s[10:11], v[0:1]
	s_clause 0x2
	s_load_b64 s[10:11], s[0:1], 0x0
	s_load_b64 s[18:19], s[0:1], 0x10
	;; [unrolled: 1-line block ×3, first 2 shown]
	s_wait_kmcnt 0x0
	s_cmp_neq_f16 s11, 0
	s_mov_b32 s0, s10
	s_cselect_b32 s13, -1, 0
	s_ashr_i32 s1, s10, 31
	s_delay_alu instid0(SALU_CYCLE_1)
	v_cmp_gt_i64_e32 vcc_lo, s[0:1], v[0:1]
	s_add_nc_u64 s[0:1], s[18:19], s[16:17]
	s_delay_alu instid0(VALU_DEP_3) | instid1(SALU_CYCLE_1)
	v_lshl_add_u64 v[0:1], v[2:3], 1, s[0:1]
	s_delay_alu instid0(VALU_DEP_3)
	v_lshl_add_u64 v[2:3], v[4:5], 1, s[6:7]
	s_cvt_f32_f16 s0, s11
	s_and_b32 s1, s13, vcc_lo
	s_branch .LBB149_3
.LBB149_2:                              ;   in Loop: Header=BB149_3 Depth=1
	s_wait_xcnt 0x0
	s_or_b32 exec_lo, exec_lo, s6
	s_add_co_i32 s2, s2, 0x10000
	s_delay_alu instid0(SALU_CYCLE_1)
	s_cmp_lt_u32 s2, s12
	s_cbranch_scc0 .LBB149_5
.LBB149_3:                              ; =>This Inner Loop Header: Depth=1
	s_and_saveexec_b32 s6, s1
	s_cbranch_execz .LBB149_2
; %bb.4:                                ;   in Loop: Header=BB149_3 Depth=1
	s_mul_u64 s[10:11], s[8:9], s[2:3]
	s_mul_u64 s[14:15], s[4:5], s[2:3]
	v_lshl_add_u64 v[4:5], s[10:11], 1, v[2:3]
	v_lshl_add_u64 v[6:7], s[14:15], 1, v[0:1]
	global_load_u16 v8, v[4:5], off
	global_load_u16 v9, v[6:7], off
	s_wait_loadcnt 0x0
	s_wait_xcnt 0x0
	v_fma_mixlo_f16 v6, s0, v9, v8 op_sel_hi:[0,1,1]
	global_store_b16 v[4:5], v6, off
	s_branch .LBB149_2
.LBB149_5:
	s_endpgm
	.section	.rodata,"a",@progbits
	.p2align	6, 0x0
	.amdhsa_kernel _ZL19rocblas_axpy_kernelIlLi256EfDF16_PKDF16_PDF16_EviT2_lT3_lT_lT4_lS5_li
		.amdhsa_group_segment_fixed_size 0
		.amdhsa_private_segment_fixed_size 0
		.amdhsa_kernarg_size 84
		.amdhsa_user_sgpr_count 2
		.amdhsa_user_sgpr_dispatch_ptr 0
		.amdhsa_user_sgpr_queue_ptr 0
		.amdhsa_user_sgpr_kernarg_segment_ptr 1
		.amdhsa_user_sgpr_dispatch_id 0
		.amdhsa_user_sgpr_kernarg_preload_length 0
		.amdhsa_user_sgpr_kernarg_preload_offset 0
		.amdhsa_user_sgpr_private_segment_size 0
		.amdhsa_wavefront_size32 1
		.amdhsa_uses_dynamic_stack 0
		.amdhsa_enable_private_segment 0
		.amdhsa_system_sgpr_workgroup_id_x 1
		.amdhsa_system_sgpr_workgroup_id_y 0
		.amdhsa_system_sgpr_workgroup_id_z 1
		.amdhsa_system_sgpr_workgroup_info 0
		.amdhsa_system_vgpr_workitem_id 0
		.amdhsa_next_free_vgpr 10
		.amdhsa_next_free_sgpr 21
		.amdhsa_named_barrier_count 0
		.amdhsa_reserve_vcc 1
		.amdhsa_float_round_mode_32 0
		.amdhsa_float_round_mode_16_64 0
		.amdhsa_float_denorm_mode_32 3
		.amdhsa_float_denorm_mode_16_64 3
		.amdhsa_fp16_overflow 0
		.amdhsa_memory_ordered 1
		.amdhsa_forward_progress 1
		.amdhsa_inst_pref_size 3
		.amdhsa_round_robin_scheduling 0
		.amdhsa_exception_fp_ieee_invalid_op 0
		.amdhsa_exception_fp_denorm_src 0
		.amdhsa_exception_fp_ieee_div_zero 0
		.amdhsa_exception_fp_ieee_overflow 0
		.amdhsa_exception_fp_ieee_underflow 0
		.amdhsa_exception_fp_ieee_inexact 0
		.amdhsa_exception_int_div_zero 0
	.end_amdhsa_kernel
	.section	.text._ZL19rocblas_axpy_kernelIlLi256EfDF16_PKDF16_PDF16_EviT2_lT3_lT_lT4_lS5_li,"axG",@progbits,_ZL19rocblas_axpy_kernelIlLi256EfDF16_PKDF16_PDF16_EviT2_lT3_lT_lT4_lS5_li,comdat
.Lfunc_end149:
	.size	_ZL19rocblas_axpy_kernelIlLi256EfDF16_PKDF16_PDF16_EviT2_lT3_lT_lT4_lS5_li, .Lfunc_end149-_ZL19rocblas_axpy_kernelIlLi256EfDF16_PKDF16_PDF16_EviT2_lT3_lT_lT4_lS5_li
                                        ; -- End function
	.set _ZL19rocblas_axpy_kernelIlLi256EfDF16_PKDF16_PDF16_EviT2_lT3_lT_lT4_lS5_li.num_vgpr, 10
	.set _ZL19rocblas_axpy_kernelIlLi256EfDF16_PKDF16_PDF16_EviT2_lT3_lT_lT4_lS5_li.num_agpr, 0
	.set _ZL19rocblas_axpy_kernelIlLi256EfDF16_PKDF16_PDF16_EviT2_lT3_lT_lT4_lS5_li.numbered_sgpr, 21
	.set _ZL19rocblas_axpy_kernelIlLi256EfDF16_PKDF16_PDF16_EviT2_lT3_lT_lT4_lS5_li.num_named_barrier, 0
	.set _ZL19rocblas_axpy_kernelIlLi256EfDF16_PKDF16_PDF16_EviT2_lT3_lT_lT4_lS5_li.private_seg_size, 0
	.set _ZL19rocblas_axpy_kernelIlLi256EfDF16_PKDF16_PDF16_EviT2_lT3_lT_lT4_lS5_li.uses_vcc, 1
	.set _ZL19rocblas_axpy_kernelIlLi256EfDF16_PKDF16_PDF16_EviT2_lT3_lT_lT4_lS5_li.uses_flat_scratch, 0
	.set _ZL19rocblas_axpy_kernelIlLi256EfDF16_PKDF16_PDF16_EviT2_lT3_lT_lT4_lS5_li.has_dyn_sized_stack, 0
	.set _ZL19rocblas_axpy_kernelIlLi256EfDF16_PKDF16_PDF16_EviT2_lT3_lT_lT4_lS5_li.has_recursion, 0
	.set _ZL19rocblas_axpy_kernelIlLi256EfDF16_PKDF16_PDF16_EviT2_lT3_lT_lT4_lS5_li.has_indirect_call, 0
	.section	.AMDGPU.csdata,"",@progbits
; Kernel info:
; codeLenInByte = 380
; TotalNumSgprs: 23
; NumVgprs: 10
; ScratchSize: 0
; MemoryBound: 0
; FloatMode: 240
; IeeeMode: 1
; LDSByteSize: 0 bytes/workgroup (compile time only)
; SGPRBlocks: 0
; VGPRBlocks: 0
; NumSGPRsForWavesPerEU: 23
; NumVGPRsForWavesPerEU: 10
; NamedBarCnt: 0
; Occupancy: 16
; WaveLimiterHint : 0
; COMPUTE_PGM_RSRC2:SCRATCH_EN: 0
; COMPUTE_PGM_RSRC2:USER_SGPR: 2
; COMPUTE_PGM_RSRC2:TRAP_HANDLER: 0
; COMPUTE_PGM_RSRC2:TGID_X_EN: 1
; COMPUTE_PGM_RSRC2:TGID_Y_EN: 0
; COMPUTE_PGM_RSRC2:TGID_Z_EN: 1
; COMPUTE_PGM_RSRC2:TIDIG_COMP_CNT: 0
	.section	.text._ZL26rocblas_haxpy_mod_8_kernelILi256EPKfPKDF16_PDF16_EviT0_lT1_llT2_lli,"axG",@progbits,_ZL26rocblas_haxpy_mod_8_kernelILi256EPKfPKDF16_PDF16_EviT0_lT1_llT2_lli,comdat
	.globl	_ZL26rocblas_haxpy_mod_8_kernelILi256EPKfPKDF16_PDF16_EviT0_lT1_llT2_lli ; -- Begin function _ZL26rocblas_haxpy_mod_8_kernelILi256EPKfPKDF16_PDF16_EviT0_lT1_llT2_lli
	.p2align	8
	.type	_ZL26rocblas_haxpy_mod_8_kernelILi256EPKfPKDF16_PDF16_EviT0_lT1_llT2_lli,@function
_ZL26rocblas_haxpy_mod_8_kernelILi256EPKfPKDF16_PDF16_EviT0_lT1_llT2_lli: ; @_ZL26rocblas_haxpy_mod_8_kernelILi256EPKfPKDF16_PDF16_EviT0_lT1_llT2_lli
; %bb.0:
	s_load_b32 s20, s[0:1], 0x48
	s_bfe_u32 s2, ttmp6, 0x40014
	s_lshr_b32 s3, ttmp7, 16
	s_add_co_i32 s2, s2, 1
	s_bfe_u32 s4, ttmp6, 0x40008
	s_mul_i32 s2, s3, s2
	s_getreg_b32 s21, hwreg(HW_REG_IB_STS2, 6, 4)
	s_add_co_i32 s4, s4, s2
	s_cmp_eq_u32 s21, 0
	s_cselect_b32 s2, s3, s4
	s_mov_b32 s3, 0
	s_wait_kmcnt 0x0
	s_cmp_ge_u32 s2, s20
	s_cbranch_scc1 .LBB150_5
; %bb.1:
	s_clause 0x1
	s_load_b32 s22, s[0:1], 0x0
	s_load_b512 s[4:19], s[0:1], 0x8
	s_wait_xcnt 0x0
	s_bfe_u32 s0, ttmp6, 0x4000c
	s_and_b32 s1, ttmp6, 15
	s_add_co_i32 s0, s0, 1
	v_mov_b32_e32 v5, 0
	s_mul_i32 s0, ttmp9, s0
	s_delay_alu instid0(SALU_CYCLE_1) | instskip(SKIP_4) | instid1(SALU_CYCLE_1)
	s_add_co_i32 s1, s1, s0
	s_wait_kmcnt 0x0
	s_ashr_i32 s23, s22, 31
	s_cmp_eq_u32 s21, 0
	s_cselect_b32 s0, ttmp9, s1
	v_lshl_or_b32 v4, s0, 8, v0
	s_lshl_b64 s[0:1], s[10:11], 1
	s_lshl_b64 s[10:11], s[16:17], 1
	s_add_nc_u64 s[0:1], s[8:9], s[0:1]
	s_add_nc_u64 s[8:9], s[14:15], s[10:11]
	v_lshlrev_b64_e32 v[2:3], 1, v[4:5]
	v_cmp_gt_i64_e32 vcc_lo, s[22:23], v[4:5]
	s_delay_alu instid0(VALU_DEP_2)
	v_add_nc_u64_e32 v[0:1], s[0:1], v[2:3]
	v_add_nc_u64_e32 v[2:3], s[8:9], v[2:3]
	s_branch .LBB150_3
.LBB150_2:                              ;   in Loop: Header=BB150_3 Depth=1
	s_wait_xcnt 0x0
	s_or_b32 exec_lo, exec_lo, s1
	s_add_co_i32 s2, s2, 0x10000
	s_delay_alu instid0(SALU_CYCLE_1)
	s_cmp_lt_u32 s2, s20
	s_cbranch_scc0 .LBB150_5
.LBB150_3:                              ; =>This Inner Loop Header: Depth=1
	s_mul_u64 s[0:1], s[6:7], s[2:3]
	s_delay_alu instid0(SALU_CYCLE_1) | instskip(NEXT) | instid1(SALU_CYCLE_1)
	s_lshl_b64 s[0:1], s[0:1], 2
	s_add_nc_u64 s[0:1], s[4:5], s[0:1]
	s_load_b32 s0, s[0:1], 0x0
	s_wait_kmcnt 0x0
	s_cmp_neq_f32 s0, 0
	s_wait_xcnt 0x0
	s_cselect_b32 s1, -1, 0
	s_delay_alu instid0(SALU_CYCLE_1) | instskip(NEXT) | instid1(SALU_CYCLE_1)
	s_and_b32 s8, vcc_lo, s1
	s_and_saveexec_b32 s1, s8
	s_cbranch_execz .LBB150_2
; %bb.4:                                ;   in Loop: Header=BB150_3 Depth=1
	s_mul_u64 s[8:9], s[12:13], s[2:3]
	s_mul_u64 s[10:11], s[18:19], s[2:3]
	v_lshl_add_u64 v[4:5], s[8:9], 1, v[0:1]
	v_lshl_add_u64 v[6:7], s[10:11], 1, v[2:3]
	global_load_u16 v8, v[4:5], off
	global_load_u16 v9, v[6:7], off
	s_wait_loadcnt 0x0
	s_wait_xcnt 0x1
	v_fma_mixlo_f16 v4, s0, v8, v9 op_sel_hi:[0,1,1]
	global_store_b16 v[6:7], v4, off
	s_branch .LBB150_2
.LBB150_5:
	s_endpgm
	.section	.rodata,"a",@progbits
	.p2align	6, 0x0
	.amdhsa_kernel _ZL26rocblas_haxpy_mod_8_kernelILi256EPKfPKDF16_PDF16_EviT0_lT1_llT2_lli
		.amdhsa_group_segment_fixed_size 0
		.amdhsa_private_segment_fixed_size 0
		.amdhsa_kernarg_size 76
		.amdhsa_user_sgpr_count 2
		.amdhsa_user_sgpr_dispatch_ptr 0
		.amdhsa_user_sgpr_queue_ptr 0
		.amdhsa_user_sgpr_kernarg_segment_ptr 1
		.amdhsa_user_sgpr_dispatch_id 0
		.amdhsa_user_sgpr_kernarg_preload_length 0
		.amdhsa_user_sgpr_kernarg_preload_offset 0
		.amdhsa_user_sgpr_private_segment_size 0
		.amdhsa_wavefront_size32 1
		.amdhsa_uses_dynamic_stack 0
		.amdhsa_enable_private_segment 0
		.amdhsa_system_sgpr_workgroup_id_x 1
		.amdhsa_system_sgpr_workgroup_id_y 0
		.amdhsa_system_sgpr_workgroup_id_z 1
		.amdhsa_system_sgpr_workgroup_info 0
		.amdhsa_system_vgpr_workitem_id 0
		.amdhsa_next_free_vgpr 10
		.amdhsa_next_free_sgpr 24
		.amdhsa_named_barrier_count 0
		.amdhsa_reserve_vcc 1
		.amdhsa_float_round_mode_32 0
		.amdhsa_float_round_mode_16_64 0
		.amdhsa_float_denorm_mode_32 3
		.amdhsa_float_denorm_mode_16_64 3
		.amdhsa_fp16_overflow 0
		.amdhsa_memory_ordered 1
		.amdhsa_forward_progress 1
		.amdhsa_inst_pref_size 3
		.amdhsa_round_robin_scheduling 0
		.amdhsa_exception_fp_ieee_invalid_op 0
		.amdhsa_exception_fp_denorm_src 0
		.amdhsa_exception_fp_ieee_div_zero 0
		.amdhsa_exception_fp_ieee_overflow 0
		.amdhsa_exception_fp_ieee_underflow 0
		.amdhsa_exception_fp_ieee_inexact 0
		.amdhsa_exception_int_div_zero 0
	.end_amdhsa_kernel
	.section	.text._ZL26rocblas_haxpy_mod_8_kernelILi256EPKfPKDF16_PDF16_EviT0_lT1_llT2_lli,"axG",@progbits,_ZL26rocblas_haxpy_mod_8_kernelILi256EPKfPKDF16_PDF16_EviT0_lT1_llT2_lli,comdat
.Lfunc_end150:
	.size	_ZL26rocblas_haxpy_mod_8_kernelILi256EPKfPKDF16_PDF16_EviT0_lT1_llT2_lli, .Lfunc_end150-_ZL26rocblas_haxpy_mod_8_kernelILi256EPKfPKDF16_PDF16_EviT0_lT1_llT2_lli
                                        ; -- End function
	.set _ZL26rocblas_haxpy_mod_8_kernelILi256EPKfPKDF16_PDF16_EviT0_lT1_llT2_lli.num_vgpr, 10
	.set _ZL26rocblas_haxpy_mod_8_kernelILi256EPKfPKDF16_PDF16_EviT0_lT1_llT2_lli.num_agpr, 0
	.set _ZL26rocblas_haxpy_mod_8_kernelILi256EPKfPKDF16_PDF16_EviT0_lT1_llT2_lli.numbered_sgpr, 24
	.set _ZL26rocblas_haxpy_mod_8_kernelILi256EPKfPKDF16_PDF16_EviT0_lT1_llT2_lli.num_named_barrier, 0
	.set _ZL26rocblas_haxpy_mod_8_kernelILi256EPKfPKDF16_PDF16_EviT0_lT1_llT2_lli.private_seg_size, 0
	.set _ZL26rocblas_haxpy_mod_8_kernelILi256EPKfPKDF16_PDF16_EviT0_lT1_llT2_lli.uses_vcc, 1
	.set _ZL26rocblas_haxpy_mod_8_kernelILi256EPKfPKDF16_PDF16_EviT0_lT1_llT2_lli.uses_flat_scratch, 0
	.set _ZL26rocblas_haxpy_mod_8_kernelILi256EPKfPKDF16_PDF16_EviT0_lT1_llT2_lli.has_dyn_sized_stack, 0
	.set _ZL26rocblas_haxpy_mod_8_kernelILi256EPKfPKDF16_PDF16_EviT0_lT1_llT2_lli.has_recursion, 0
	.set _ZL26rocblas_haxpy_mod_8_kernelILi256EPKfPKDF16_PDF16_EviT0_lT1_llT2_lli.has_indirect_call, 0
	.section	.AMDGPU.csdata,"",@progbits
; Kernel info:
; codeLenInByte = 356
; TotalNumSgprs: 26
; NumVgprs: 10
; ScratchSize: 0
; MemoryBound: 0
; FloatMode: 240
; IeeeMode: 1
; LDSByteSize: 0 bytes/workgroup (compile time only)
; SGPRBlocks: 0
; VGPRBlocks: 0
; NumSGPRsForWavesPerEU: 26
; NumVGPRsForWavesPerEU: 10
; NamedBarCnt: 0
; Occupancy: 16
; WaveLimiterHint : 0
; COMPUTE_PGM_RSRC2:SCRATCH_EN: 0
; COMPUTE_PGM_RSRC2:USER_SGPR: 2
; COMPUTE_PGM_RSRC2:TRAP_HANDLER: 0
; COMPUTE_PGM_RSRC2:TGID_X_EN: 1
; COMPUTE_PGM_RSRC2:TGID_Y_EN: 0
; COMPUTE_PGM_RSRC2:TGID_Z_EN: 1
; COMPUTE_PGM_RSRC2:TIDIG_COMP_CNT: 0
	.section	.text._ZL26rocblas_haxpy_mod_8_kernelILi256EfPKDF16_PDF16_EviT0_lT1_llT2_lli,"axG",@progbits,_ZL26rocblas_haxpy_mod_8_kernelILi256EfPKDF16_PDF16_EviT0_lT1_llT2_lli,comdat
	.globl	_ZL26rocblas_haxpy_mod_8_kernelILi256EfPKDF16_PDF16_EviT0_lT1_llT2_lli ; -- Begin function _ZL26rocblas_haxpy_mod_8_kernelILi256EfPKDF16_PDF16_EviT0_lT1_llT2_lli
	.p2align	8
	.type	_ZL26rocblas_haxpy_mod_8_kernelILi256EfPKDF16_PDF16_EviT0_lT1_llT2_lli,@function
_ZL26rocblas_haxpy_mod_8_kernelILi256EfPKDF16_PDF16_EviT0_lT1_llT2_lli: ; @_ZL26rocblas_haxpy_mod_8_kernelILi256EfPKDF16_PDF16_EviT0_lT1_llT2_lli
; %bb.0:
	s_load_b32 s18, s[0:1], 0x40
	s_bfe_u32 s2, ttmp6, 0x40014
	s_lshr_b32 s3, ttmp7, 16
	s_add_co_i32 s2, s2, 1
	s_bfe_u32 s4, ttmp6, 0x40008
	s_mul_i32 s2, s3, s2
	s_getreg_b32 s19, hwreg(HW_REG_IB_STS2, 6, 4)
	s_add_co_i32 s4, s4, s2
	s_cmp_eq_u32 s19, 0
	s_cselect_b32 s2, s3, s4
	s_mov_b32 s3, 0
	s_wait_kmcnt 0x0
	s_cmp_ge_u32 s2, s18
	s_cbranch_scc1 .LBB151_5
; %bb.1:
	s_clause 0x2
	s_load_b256 s[4:11], s[0:1], 0x10
	s_load_b128 s[12:15], s[0:1], 0x30
	s_load_b64 s[16:17], s[0:1], 0x0
	s_wait_xcnt 0x0
	s_bfe_u32 s0, ttmp6, 0x4000c
	s_and_b32 s1, ttmp6, 15
	s_add_co_i32 s0, s0, 1
	v_mov_b32_e32 v1, 0
	s_mul_i32 s0, ttmp9, s0
	s_delay_alu instid0(SALU_CYCLE_1) | instskip(SKIP_2) | instid1(SALU_CYCLE_1)
	s_add_co_i32 s1, s1, s0
	s_cmp_eq_u32 s19, 0
	s_cselect_b32 s0, ttmp9, s1
	v_lshl_or_b32 v0, s0, 8, v0
	s_delay_alu instid0(VALU_DEP_1)
	v_lshlrev_b64_e32 v[2:3], 1, v[0:1]
	s_wait_kmcnt 0x0
	s_lshl_b64 s[0:1], s[6:7], 1
	s_lshl_b64 s[6:7], s[12:13], 1
	s_cmp_neq_f32 s17, 0
	s_add_nc_u64 s[0:1], s[4:5], s[0:1]
	s_mov_b32 s4, s16
	s_add_nc_u64 s[6:7], s[10:11], s[6:7]
	s_cselect_b32 s12, -1, 0
	s_ashr_i32 s5, s16, 31
	s_delay_alu instid0(SALU_CYCLE_1)
	v_cmp_gt_i64_e32 vcc_lo, s[4:5], v[0:1]
	v_add_nc_u64_e32 v[0:1], s[0:1], v[2:3]
	v_add_nc_u64_e32 v[2:3], s[6:7], v[2:3]
	s_and_b32 s0, s12, vcc_lo
	s_branch .LBB151_3
.LBB151_2:                              ;   in Loop: Header=BB151_3 Depth=1
	s_wait_xcnt 0x0
	s_or_b32 exec_lo, exec_lo, s1
	s_add_co_i32 s2, s2, 0x10000
	s_delay_alu instid0(SALU_CYCLE_1)
	s_cmp_lt_u32 s2, s18
	s_cbranch_scc0 .LBB151_5
.LBB151_3:                              ; =>This Inner Loop Header: Depth=1
	s_and_saveexec_b32 s1, s0
	s_cbranch_execz .LBB151_2
; %bb.4:                                ;   in Loop: Header=BB151_3 Depth=1
	s_mul_u64 s[4:5], s[8:9], s[2:3]
	s_mul_u64 s[6:7], s[14:15], s[2:3]
	v_lshl_add_u64 v[4:5], s[4:5], 1, v[0:1]
	v_lshl_add_u64 v[6:7], s[6:7], 1, v[2:3]
	global_load_u16 v8, v[4:5], off
	global_load_u16 v9, v[6:7], off
	s_wait_loadcnt 0x0
	s_wait_xcnt 0x1
	v_fma_mixlo_f16 v4, s17, v8, v9 op_sel_hi:[0,1,1]
	global_store_b16 v[6:7], v4, off
	s_branch .LBB151_2
.LBB151_5:
	s_endpgm
	.section	.rodata,"a",@progbits
	.p2align	6, 0x0
	.amdhsa_kernel _ZL26rocblas_haxpy_mod_8_kernelILi256EfPKDF16_PDF16_EviT0_lT1_llT2_lli
		.amdhsa_group_segment_fixed_size 0
		.amdhsa_private_segment_fixed_size 0
		.amdhsa_kernarg_size 68
		.amdhsa_user_sgpr_count 2
		.amdhsa_user_sgpr_dispatch_ptr 0
		.amdhsa_user_sgpr_queue_ptr 0
		.amdhsa_user_sgpr_kernarg_segment_ptr 1
		.amdhsa_user_sgpr_dispatch_id 0
		.amdhsa_user_sgpr_kernarg_preload_length 0
		.amdhsa_user_sgpr_kernarg_preload_offset 0
		.amdhsa_user_sgpr_private_segment_size 0
		.amdhsa_wavefront_size32 1
		.amdhsa_uses_dynamic_stack 0
		.amdhsa_enable_private_segment 0
		.amdhsa_system_sgpr_workgroup_id_x 1
		.amdhsa_system_sgpr_workgroup_id_y 0
		.amdhsa_system_sgpr_workgroup_id_z 1
		.amdhsa_system_sgpr_workgroup_info 0
		.amdhsa_system_vgpr_workitem_id 0
		.amdhsa_next_free_vgpr 10
		.amdhsa_next_free_sgpr 20
		.amdhsa_named_barrier_count 0
		.amdhsa_reserve_vcc 1
		.amdhsa_float_round_mode_32 0
		.amdhsa_float_round_mode_16_64 0
		.amdhsa_float_denorm_mode_32 3
		.amdhsa_float_denorm_mode_16_64 3
		.amdhsa_fp16_overflow 0
		.amdhsa_memory_ordered 1
		.amdhsa_forward_progress 1
		.amdhsa_inst_pref_size 3
		.amdhsa_round_robin_scheduling 0
		.amdhsa_exception_fp_ieee_invalid_op 0
		.amdhsa_exception_fp_denorm_src 0
		.amdhsa_exception_fp_ieee_div_zero 0
		.amdhsa_exception_fp_ieee_overflow 0
		.amdhsa_exception_fp_ieee_underflow 0
		.amdhsa_exception_fp_ieee_inexact 0
		.amdhsa_exception_int_div_zero 0
	.end_amdhsa_kernel
	.section	.text._ZL26rocblas_haxpy_mod_8_kernelILi256EfPKDF16_PDF16_EviT0_lT1_llT2_lli,"axG",@progbits,_ZL26rocblas_haxpy_mod_8_kernelILi256EfPKDF16_PDF16_EviT0_lT1_llT2_lli,comdat
.Lfunc_end151:
	.size	_ZL26rocblas_haxpy_mod_8_kernelILi256EfPKDF16_PDF16_EviT0_lT1_llT2_lli, .Lfunc_end151-_ZL26rocblas_haxpy_mod_8_kernelILi256EfPKDF16_PDF16_EviT0_lT1_llT2_lli
                                        ; -- End function
	.set _ZL26rocblas_haxpy_mod_8_kernelILi256EfPKDF16_PDF16_EviT0_lT1_llT2_lli.num_vgpr, 10
	.set _ZL26rocblas_haxpy_mod_8_kernelILi256EfPKDF16_PDF16_EviT0_lT1_llT2_lli.num_agpr, 0
	.set _ZL26rocblas_haxpy_mod_8_kernelILi256EfPKDF16_PDF16_EviT0_lT1_llT2_lli.numbered_sgpr, 20
	.set _ZL26rocblas_haxpy_mod_8_kernelILi256EfPKDF16_PDF16_EviT0_lT1_llT2_lli.num_named_barrier, 0
	.set _ZL26rocblas_haxpy_mod_8_kernelILi256EfPKDF16_PDF16_EviT0_lT1_llT2_lli.private_seg_size, 0
	.set _ZL26rocblas_haxpy_mod_8_kernelILi256EfPKDF16_PDF16_EviT0_lT1_llT2_lli.uses_vcc, 1
	.set _ZL26rocblas_haxpy_mod_8_kernelILi256EfPKDF16_PDF16_EviT0_lT1_llT2_lli.uses_flat_scratch, 0
	.set _ZL26rocblas_haxpy_mod_8_kernelILi256EfPKDF16_PDF16_EviT0_lT1_llT2_lli.has_dyn_sized_stack, 0
	.set _ZL26rocblas_haxpy_mod_8_kernelILi256EfPKDF16_PDF16_EviT0_lT1_llT2_lli.has_recursion, 0
	.set _ZL26rocblas_haxpy_mod_8_kernelILi256EfPKDF16_PDF16_EviT0_lT1_llT2_lli.has_indirect_call, 0
	.section	.AMDGPU.csdata,"",@progbits
; Kernel info:
; codeLenInByte = 336
; TotalNumSgprs: 22
; NumVgprs: 10
; ScratchSize: 0
; MemoryBound: 0
; FloatMode: 240
; IeeeMode: 1
; LDSByteSize: 0 bytes/workgroup (compile time only)
; SGPRBlocks: 0
; VGPRBlocks: 0
; NumSGPRsForWavesPerEU: 22
; NumVGPRsForWavesPerEU: 10
; NamedBarCnt: 0
; Occupancy: 16
; WaveLimiterHint : 0
; COMPUTE_PGM_RSRC2:SCRATCH_EN: 0
; COMPUTE_PGM_RSRC2:USER_SGPR: 2
; COMPUTE_PGM_RSRC2:TRAP_HANDLER: 0
; COMPUTE_PGM_RSRC2:TGID_X_EN: 1
; COMPUTE_PGM_RSRC2:TGID_Y_EN: 0
; COMPUTE_PGM_RSRC2:TGID_Z_EN: 1
; COMPUTE_PGM_RSRC2:TIDIG_COMP_CNT: 0
	.section	.text._ZL22rocblas_saxpy_2_kernelILi256EfPKfPKDF16_PDF16_EviT1_lT2_llT3_lli,"axG",@progbits,_ZL22rocblas_saxpy_2_kernelILi256EfPKfPKDF16_PDF16_EviT1_lT2_llT3_lli,comdat
	.globl	_ZL22rocblas_saxpy_2_kernelILi256EfPKfPKDF16_PDF16_EviT1_lT2_llT3_lli ; -- Begin function _ZL22rocblas_saxpy_2_kernelILi256EfPKfPKDF16_PDF16_EviT1_lT2_llT3_lli
	.p2align	8
	.type	_ZL22rocblas_saxpy_2_kernelILi256EfPKfPKDF16_PDF16_EviT1_lT2_llT3_lli,@function
_ZL22rocblas_saxpy_2_kernelILi256EfPKfPKDF16_PDF16_EviT1_lT2_llT3_lli: ; @_ZL22rocblas_saxpy_2_kernelILi256EfPKfPKDF16_PDF16_EviT1_lT2_llT3_lli
; %bb.0:
	s_load_b32 s16, s[0:1], 0x48
	s_bfe_u32 s2, ttmp6, 0x40014
	s_lshr_b32 s3, ttmp7, 16
	s_add_co_i32 s2, s2, 1
	s_bfe_u32 s4, ttmp6, 0x40008
	s_mul_i32 s2, s3, s2
	s_getreg_b32 s17, hwreg(HW_REG_IB_STS2, 6, 4)
	s_add_co_i32 s4, s4, s2
	s_cmp_eq_u32 s17, 0
	s_cselect_b32 s2, s3, s4
	s_mov_b32 s3, 0
	s_wait_kmcnt 0x0
	s_cmp_ge_u32 s2, s16
	s_cbranch_scc1 .LBB152_9
; %bb.1:
	s_clause 0x4
	s_load_b32 s24, s[0:1], 0x0
	s_load_b128 s[4:7], s[0:1], 0x20
	s_load_b128 s[8:11], s[0:1], 0x38
	s_load_b64 s[18:19], s[0:1], 0x18
	s_load_b64 s[20:21], s[0:1], 0x30
	s_bfe_u32 s22, ttmp6, 0x4000c
	s_load_b128 s[12:15], s[0:1], 0x8
	s_add_co_i32 s22, s22, 1
	s_wait_xcnt 0x0
	s_and_b32 s0, ttmp6, 15
	s_mul_i32 s1, ttmp9, s22
	v_dual_mov_b32 v1, 0 :: v_dual_lshlrev_b32 v0, 1, v0
	s_add_co_i32 s0, s0, s1
	s_cmp_eq_u32 s17, 0
	s_cselect_b32 s0, ttmp9, s0
	s_delay_alu instid0(VALU_DEP_1) | instid1(SALU_CYCLE_1)
	v_lshl_or_b32 v0, s0, 9, v0
	s_wait_kmcnt 0x0
	s_add_co_i32 s22, s24, -1
	s_lshl_b64 s[4:5], s[4:5], 1
	s_ashr_i32 s23, s22, 31
	s_lshl_b64 s[8:9], s[8:9], 1
	v_cmp_eq_u64_e64 s0, s[22:23], v[0:1]
	v_cmp_gt_i64_e32 vcc_lo, s[22:23], v[0:1]
	v_lshlrev_b64_e32 v[0:1], 1, v[0:1]
	s_bitcmp1_b32 s24, 0
	s_add_nc_u64 s[4:5], s[18:19], s[4:5]
	s_cselect_b32 s1, -1, 0
	s_add_nc_u64 s[8:9], s[20:21], s[8:9]
	s_and_b32 s1, s1, s0
	s_branch .LBB152_4
.LBB152_2:                              ;   in Loop: Header=BB152_4 Depth=1
	s_wait_xcnt 0x0
	s_or_b32 exec_lo, exec_lo, s17
.LBB152_3:                              ;   in Loop: Header=BB152_4 Depth=1
	s_add_co_i32 s2, s2, 0x10000
	s_delay_alu instid0(SALU_CYCLE_1)
	s_cmp_lt_u32 s2, s16
	s_cbranch_scc0 .LBB152_9
.LBB152_4:                              ; =>This Inner Loop Header: Depth=1
	s_wait_xcnt 0x0
	s_mul_u64 s[18:19], s[14:15], s[2:3]
	s_delay_alu instid0(SALU_CYCLE_1) | instskip(NEXT) | instid1(SALU_CYCLE_1)
	s_lshl_b64 s[18:19], s[18:19], 2
	s_add_nc_u64 s[18:19], s[12:13], s[18:19]
	s_load_b32 s0, s[18:19], 0x0
	s_wait_kmcnt 0x0
	s_cmp_eq_f32 s0, 0
	s_cbranch_scc1 .LBB152_3
; %bb.5:                                ;   in Loop: Header=BB152_4 Depth=1
	s_wait_xcnt 0x0
	s_mul_u64 s[18:19], s[10:11], s[2:3]
	s_mul_u64 s[20:21], s[6:7], s[2:3]
	s_lshl_b64 s[18:19], s[18:19], 1
	s_lshl_b64 s[20:21], s[20:21], 1
	s_add_nc_u64 s[18:19], s[8:9], s[18:19]
	s_add_nc_u64 s[20:21], s[4:5], s[20:21]
	v_add_nc_u64_e32 v[2:3], s[18:19], v[0:1]
	v_add_nc_u64_e32 v[4:5], s[20:21], v[0:1]
	s_and_saveexec_b32 s17, vcc_lo
	s_cbranch_execz .LBB152_7
; %bb.6:                                ;   in Loop: Header=BB152_4 Depth=1
	global_load_b32 v6, v[2:3], off
	global_load_b32 v7, v[4:5], off
	s_wait_loadcnt 0x0
	v_dual_lshrrev_b32 v9, 16, v6 :: v_dual_lshrrev_b32 v10, 16, v7
	v_cvt_f32_f16_e32 v6, v6
	v_cvt_f32_f16_e32 v8, v7
	s_delay_alu instid0(VALU_DEP_3) | instskip(NEXT) | instid1(VALU_DEP_4)
	v_cvt_f32_f16_e32 v7, v9
	v_cvt_f32_f16_e32 v9, v10
	s_delay_alu instid0(VALU_DEP_1) | instskip(NEXT) | instid1(VALU_DEP_1)
	v_pk_fma_f32 v[6:7], s[0:1], v[8:9], v[6:7] op_sel_hi:[0,1,1]
	v_cvt_pk_f16_f32 v6, v6, v7
	global_store_b32 v[2:3], v6, off
.LBB152_7:                              ;   in Loop: Header=BB152_4 Depth=1
	s_wait_xcnt 0x0
	s_or_b32 exec_lo, exec_lo, s17
	s_and_saveexec_b32 s17, s1
	s_cbranch_execz .LBB152_2
; %bb.8:                                ;   in Loop: Header=BB152_4 Depth=1
	global_load_u16 v6, v[2:3], off
	global_load_u16 v7, v[4:5], off
	s_wait_loadcnt 0x0
	v_fma_mixlo_f16 v4, s0, v7, v6 op_sel_hi:[0,1,1]
	global_store_b16 v[2:3], v4, off
	s_branch .LBB152_2
.LBB152_9:
	s_endpgm
	.section	.rodata,"a",@progbits
	.p2align	6, 0x0
	.amdhsa_kernel _ZL22rocblas_saxpy_2_kernelILi256EfPKfPKDF16_PDF16_EviT1_lT2_llT3_lli
		.amdhsa_group_segment_fixed_size 0
		.amdhsa_private_segment_fixed_size 0
		.amdhsa_kernarg_size 76
		.amdhsa_user_sgpr_count 2
		.amdhsa_user_sgpr_dispatch_ptr 0
		.amdhsa_user_sgpr_queue_ptr 0
		.amdhsa_user_sgpr_kernarg_segment_ptr 1
		.amdhsa_user_sgpr_dispatch_id 0
		.amdhsa_user_sgpr_kernarg_preload_length 0
		.amdhsa_user_sgpr_kernarg_preload_offset 0
		.amdhsa_user_sgpr_private_segment_size 0
		.amdhsa_wavefront_size32 1
		.amdhsa_uses_dynamic_stack 0
		.amdhsa_enable_private_segment 0
		.amdhsa_system_sgpr_workgroup_id_x 1
		.amdhsa_system_sgpr_workgroup_id_y 0
		.amdhsa_system_sgpr_workgroup_id_z 1
		.amdhsa_system_sgpr_workgroup_info 0
		.amdhsa_system_vgpr_workitem_id 0
		.amdhsa_next_free_vgpr 11
		.amdhsa_next_free_sgpr 25
		.amdhsa_named_barrier_count 0
		.amdhsa_reserve_vcc 1
		.amdhsa_float_round_mode_32 0
		.amdhsa_float_round_mode_16_64 0
		.amdhsa_float_denorm_mode_32 3
		.amdhsa_float_denorm_mode_16_64 3
		.amdhsa_fp16_overflow 0
		.amdhsa_memory_ordered 1
		.amdhsa_forward_progress 1
		.amdhsa_inst_pref_size 4
		.amdhsa_round_robin_scheduling 0
		.amdhsa_exception_fp_ieee_invalid_op 0
		.amdhsa_exception_fp_denorm_src 0
		.amdhsa_exception_fp_ieee_div_zero 0
		.amdhsa_exception_fp_ieee_overflow 0
		.amdhsa_exception_fp_ieee_underflow 0
		.amdhsa_exception_fp_ieee_inexact 0
		.amdhsa_exception_int_div_zero 0
	.end_amdhsa_kernel
	.section	.text._ZL22rocblas_saxpy_2_kernelILi256EfPKfPKDF16_PDF16_EviT1_lT2_llT3_lli,"axG",@progbits,_ZL22rocblas_saxpy_2_kernelILi256EfPKfPKDF16_PDF16_EviT1_lT2_llT3_lli,comdat
.Lfunc_end152:
	.size	_ZL22rocblas_saxpy_2_kernelILi256EfPKfPKDF16_PDF16_EviT1_lT2_llT3_lli, .Lfunc_end152-_ZL22rocblas_saxpy_2_kernelILi256EfPKfPKDF16_PDF16_EviT1_lT2_llT3_lli
                                        ; -- End function
	.set _ZL22rocblas_saxpy_2_kernelILi256EfPKfPKDF16_PDF16_EviT1_lT2_llT3_lli.num_vgpr, 11
	.set _ZL22rocblas_saxpy_2_kernelILi256EfPKfPKDF16_PDF16_EviT1_lT2_llT3_lli.num_agpr, 0
	.set _ZL22rocblas_saxpy_2_kernelILi256EfPKfPKDF16_PDF16_EviT1_lT2_llT3_lli.numbered_sgpr, 25
	.set _ZL22rocblas_saxpy_2_kernelILi256EfPKfPKDF16_PDF16_EviT1_lT2_llT3_lli.num_named_barrier, 0
	.set _ZL22rocblas_saxpy_2_kernelILi256EfPKfPKDF16_PDF16_EviT1_lT2_llT3_lli.private_seg_size, 0
	.set _ZL22rocblas_saxpy_2_kernelILi256EfPKfPKDF16_PDF16_EviT1_lT2_llT3_lli.uses_vcc, 1
	.set _ZL22rocblas_saxpy_2_kernelILi256EfPKfPKDF16_PDF16_EviT1_lT2_llT3_lli.uses_flat_scratch, 0
	.set _ZL22rocblas_saxpy_2_kernelILi256EfPKfPKDF16_PDF16_EviT1_lT2_llT3_lli.has_dyn_sized_stack, 0
	.set _ZL22rocblas_saxpy_2_kernelILi256EfPKfPKDF16_PDF16_EviT1_lT2_llT3_lli.has_recursion, 0
	.set _ZL22rocblas_saxpy_2_kernelILi256EfPKfPKDF16_PDF16_EviT1_lT2_llT3_lli.has_indirect_call, 0
	.section	.AMDGPU.csdata,"",@progbits
; Kernel info:
; codeLenInByte = 512
; TotalNumSgprs: 27
; NumVgprs: 11
; ScratchSize: 0
; MemoryBound: 0
; FloatMode: 240
; IeeeMode: 1
; LDSByteSize: 0 bytes/workgroup (compile time only)
; SGPRBlocks: 0
; VGPRBlocks: 0
; NumSGPRsForWavesPerEU: 27
; NumVGPRsForWavesPerEU: 11
; NamedBarCnt: 0
; Occupancy: 16
; WaveLimiterHint : 0
; COMPUTE_PGM_RSRC2:SCRATCH_EN: 0
; COMPUTE_PGM_RSRC2:USER_SGPR: 2
; COMPUTE_PGM_RSRC2:TRAP_HANDLER: 0
; COMPUTE_PGM_RSRC2:TGID_X_EN: 1
; COMPUTE_PGM_RSRC2:TGID_Y_EN: 0
; COMPUTE_PGM_RSRC2:TGID_Z_EN: 1
; COMPUTE_PGM_RSRC2:TIDIG_COMP_CNT: 0
	.section	.text._ZL22rocblas_saxpy_2_kernelILi256EffPKDF16_PDF16_EviT1_lT2_llT3_lli,"axG",@progbits,_ZL22rocblas_saxpy_2_kernelILi256EffPKDF16_PDF16_EviT1_lT2_llT3_lli,comdat
	.globl	_ZL22rocblas_saxpy_2_kernelILi256EffPKDF16_PDF16_EviT1_lT2_llT3_lli ; -- Begin function _ZL22rocblas_saxpy_2_kernelILi256EffPKDF16_PDF16_EviT1_lT2_llT3_lli
	.p2align	8
	.type	_ZL22rocblas_saxpy_2_kernelILi256EffPKDF16_PDF16_EviT1_lT2_llT3_lli,@function
_ZL22rocblas_saxpy_2_kernelILi256EffPKDF16_PDF16_EviT1_lT2_llT3_lli: ; @_ZL22rocblas_saxpy_2_kernelILi256EffPKDF16_PDF16_EviT1_lT2_llT3_lli
; %bb.0:
	s_load_b32 s14, s[0:1], 0x40
	s_bfe_u32 s2, ttmp6, 0x40014
	s_lshr_b32 s3, ttmp7, 16
	s_add_co_i32 s2, s2, 1
	s_bfe_u32 s4, ttmp6, 0x40008
	s_mul_i32 s2, s3, s2
	s_getreg_b32 s15, hwreg(HW_REG_IB_STS2, 6, 4)
	s_add_co_i32 s4, s4, s2
	s_cmp_eq_u32 s15, 0
	s_cselect_b32 s2, s3, s4
	s_mov_b32 s3, 0
	s_wait_kmcnt 0x0
	s_cmp_ge_u32 s2, s14
	s_cbranch_scc1 .LBB153_9
; %bb.1:
	s_clause 0x2
	s_load_b128 s[4:7], s[0:1], 0x18
	s_load_b128 s[8:11], s[0:1], 0x30
	s_load_b64 s[12:13], s[0:1], 0x0
	s_bfe_u32 s18, ttmp6, 0x4000c
	s_and_b32 s20, ttmp6, 15
	s_add_co_i32 s18, s18, 1
	s_load_b64 s[16:17], s[0:1], 0x10
	s_mul_i32 s21, ttmp9, s18
	s_load_b64 s[18:19], s[0:1], 0x28
	s_add_co_i32 s20, s20, s21
	s_cmp_eq_u32 s15, 0
	v_dual_mov_b32 v3, 0 :: v_dual_lshlrev_b32 v0, 1, v0
	s_wait_xcnt 0x0
	s_cselect_b32 s0, ttmp9, s20
	s_delay_alu instid0(VALU_DEP_1) | instid1(SALU_CYCLE_1)
	v_lshl_or_b32 v2, s0, 9, v0
	s_wait_kmcnt 0x0
	s_lshl_b64 s[4:5], s[4:5], 1
	s_lshl_b64 s[8:9], s[8:9], 1
	s_cmp_neq_f32 s13, 0
	v_lshlrev_b64_e32 v[0:1], 1, v[2:3]
	s_add_nc_u64 s[4:5], s[16:17], s[4:5]
	s_cselect_b32 s1, -1, 0
	s_add_co_i32 s20, s12, -1
	s_add_nc_u64 s[8:9], s[18:19], s[8:9]
	s_ashr_i32 s21, s20, 31
	s_bitcmp1_b32 s12, 0
	v_cmp_eq_u64_e32 vcc_lo, s[20:21], v[2:3]
	v_cmp_gt_i64_e64 s0, s[20:21], v[2:3]
	s_cselect_b32 s12, -1, 0
	s_delay_alu instid0(SALU_CYCLE_1)
	s_and_b32 s15, s12, vcc_lo
	s_mov_b32 s12, s13
	s_branch .LBB153_4
.LBB153_2:                              ;   in Loop: Header=BB153_4 Depth=1
	s_wait_xcnt 0x0
	s_or_b32 exec_lo, exec_lo, s16
.LBB153_3:                              ;   in Loop: Header=BB153_4 Depth=1
	s_add_co_i32 s2, s2, 0x10000
	s_delay_alu instid0(SALU_CYCLE_1)
	s_cmp_lt_u32 s2, s14
	s_cbranch_scc0 .LBB153_9
.LBB153_4:                              ; =>This Inner Loop Header: Depth=1
	s_and_not1_b32 vcc_lo, exec_lo, s1
	s_cbranch_vccnz .LBB153_3
; %bb.5:                                ;   in Loop: Header=BB153_4 Depth=1
	s_mul_u64 s[16:17], s[10:11], s[2:3]
	s_mul_u64 s[18:19], s[6:7], s[2:3]
	s_lshl_b64 s[16:17], s[16:17], 1
	s_lshl_b64 s[18:19], s[18:19], 1
	s_add_nc_u64 s[16:17], s[8:9], s[16:17]
	s_add_nc_u64 s[18:19], s[4:5], s[18:19]
	v_add_nc_u64_e32 v[2:3], s[16:17], v[0:1]
	v_add_nc_u64_e32 v[4:5], s[18:19], v[0:1]
	s_and_saveexec_b32 s16, s0
	s_cbranch_execz .LBB153_7
; %bb.6:                                ;   in Loop: Header=BB153_4 Depth=1
	global_load_b32 v6, v[2:3], off
	global_load_b32 v7, v[4:5], off
	s_wait_loadcnt 0x0
	v_dual_lshrrev_b32 v9, 16, v6 :: v_dual_lshrrev_b32 v10, 16, v7
	v_cvt_f32_f16_e32 v8, v7
	v_cvt_f32_f16_e32 v6, v6
	s_delay_alu instid0(VALU_DEP_3) | instskip(NEXT) | instid1(VALU_DEP_4)
	v_cvt_f32_f16_e32 v7, v9
	v_cvt_f32_f16_e32 v9, v10
	v_mov_b64_e32 v[10:11], s[12:13]
	s_delay_alu instid0(VALU_DEP_1) | instskip(NEXT) | instid1(VALU_DEP_1)
	v_pk_fma_f32 v[6:7], v[10:11], v[8:9], v[6:7]
	v_cvt_pk_f16_f32 v6, v6, v7
	global_store_b32 v[2:3], v6, off
.LBB153_7:                              ;   in Loop: Header=BB153_4 Depth=1
	s_wait_xcnt 0x0
	s_or_b32 exec_lo, exec_lo, s16
	s_and_saveexec_b32 s16, s15
	s_cbranch_execz .LBB153_2
; %bb.8:                                ;   in Loop: Header=BB153_4 Depth=1
	global_load_u16 v6, v[2:3], off
	global_load_u16 v7, v[4:5], off
	s_wait_loadcnt 0x0
	v_fma_mixlo_f16 v4, s13, v7, v6 op_sel_hi:[0,1,1]
	global_store_b16 v[2:3], v4, off
	s_branch .LBB153_2
.LBB153_9:
	s_endpgm
	.section	.rodata,"a",@progbits
	.p2align	6, 0x0
	.amdhsa_kernel _ZL22rocblas_saxpy_2_kernelILi256EffPKDF16_PDF16_EviT1_lT2_llT3_lli
		.amdhsa_group_segment_fixed_size 0
		.amdhsa_private_segment_fixed_size 0
		.amdhsa_kernarg_size 68
		.amdhsa_user_sgpr_count 2
		.amdhsa_user_sgpr_dispatch_ptr 0
		.amdhsa_user_sgpr_queue_ptr 0
		.amdhsa_user_sgpr_kernarg_segment_ptr 1
		.amdhsa_user_sgpr_dispatch_id 0
		.amdhsa_user_sgpr_kernarg_preload_length 0
		.amdhsa_user_sgpr_kernarg_preload_offset 0
		.amdhsa_user_sgpr_private_segment_size 0
		.amdhsa_wavefront_size32 1
		.amdhsa_uses_dynamic_stack 0
		.amdhsa_enable_private_segment 0
		.amdhsa_system_sgpr_workgroup_id_x 1
		.amdhsa_system_sgpr_workgroup_id_y 0
		.amdhsa_system_sgpr_workgroup_id_z 1
		.amdhsa_system_sgpr_workgroup_info 0
		.amdhsa_system_vgpr_workitem_id 0
		.amdhsa_next_free_vgpr 12
		.amdhsa_next_free_sgpr 22
		.amdhsa_named_barrier_count 0
		.amdhsa_reserve_vcc 1
		.amdhsa_float_round_mode_32 0
		.amdhsa_float_round_mode_16_64 0
		.amdhsa_float_denorm_mode_32 3
		.amdhsa_float_denorm_mode_16_64 3
		.amdhsa_fp16_overflow 0
		.amdhsa_memory_ordered 1
		.amdhsa_forward_progress 1
		.amdhsa_inst_pref_size 4
		.amdhsa_round_robin_scheduling 0
		.amdhsa_exception_fp_ieee_invalid_op 0
		.amdhsa_exception_fp_denorm_src 0
		.amdhsa_exception_fp_ieee_div_zero 0
		.amdhsa_exception_fp_ieee_overflow 0
		.amdhsa_exception_fp_ieee_underflow 0
		.amdhsa_exception_fp_ieee_inexact 0
		.amdhsa_exception_int_div_zero 0
	.end_amdhsa_kernel
	.section	.text._ZL22rocblas_saxpy_2_kernelILi256EffPKDF16_PDF16_EviT1_lT2_llT3_lli,"axG",@progbits,_ZL22rocblas_saxpy_2_kernelILi256EffPKDF16_PDF16_EviT1_lT2_llT3_lli,comdat
.Lfunc_end153:
	.size	_ZL22rocblas_saxpy_2_kernelILi256EffPKDF16_PDF16_EviT1_lT2_llT3_lli, .Lfunc_end153-_ZL22rocblas_saxpy_2_kernelILi256EffPKDF16_PDF16_EviT1_lT2_llT3_lli
                                        ; -- End function
	.set _ZL22rocblas_saxpy_2_kernelILi256EffPKDF16_PDF16_EviT1_lT2_llT3_lli.num_vgpr, 12
	.set _ZL22rocblas_saxpy_2_kernelILi256EffPKDF16_PDF16_EviT1_lT2_llT3_lli.num_agpr, 0
	.set _ZL22rocblas_saxpy_2_kernelILi256EffPKDF16_PDF16_EviT1_lT2_llT3_lli.numbered_sgpr, 22
	.set _ZL22rocblas_saxpy_2_kernelILi256EffPKDF16_PDF16_EviT1_lT2_llT3_lli.num_named_barrier, 0
	.set _ZL22rocblas_saxpy_2_kernelILi256EffPKDF16_PDF16_EviT1_lT2_llT3_lli.private_seg_size, 0
	.set _ZL22rocblas_saxpy_2_kernelILi256EffPKDF16_PDF16_EviT1_lT2_llT3_lli.uses_vcc, 1
	.set _ZL22rocblas_saxpy_2_kernelILi256EffPKDF16_PDF16_EviT1_lT2_llT3_lli.uses_flat_scratch, 0
	.set _ZL22rocblas_saxpy_2_kernelILi256EffPKDF16_PDF16_EviT1_lT2_llT3_lli.has_dyn_sized_stack, 0
	.set _ZL22rocblas_saxpy_2_kernelILi256EffPKDF16_PDF16_EviT1_lT2_llT3_lli.has_recursion, 0
	.set _ZL22rocblas_saxpy_2_kernelILi256EffPKDF16_PDF16_EviT1_lT2_llT3_lli.has_indirect_call, 0
	.section	.AMDGPU.csdata,"",@progbits
; Kernel info:
; codeLenInByte = 488
; TotalNumSgprs: 24
; NumVgprs: 12
; ScratchSize: 0
; MemoryBound: 0
; FloatMode: 240
; IeeeMode: 1
; LDSByteSize: 0 bytes/workgroup (compile time only)
; SGPRBlocks: 0
; VGPRBlocks: 0
; NumSGPRsForWavesPerEU: 24
; NumVGPRsForWavesPerEU: 12
; NamedBarCnt: 0
; Occupancy: 16
; WaveLimiterHint : 0
; COMPUTE_PGM_RSRC2:SCRATCH_EN: 0
; COMPUTE_PGM_RSRC2:USER_SGPR: 2
; COMPUTE_PGM_RSRC2:TRAP_HANDLER: 0
; COMPUTE_PGM_RSRC2:TGID_X_EN: 1
; COMPUTE_PGM_RSRC2:TGID_Y_EN: 0
; COMPUTE_PGM_RSRC2:TGID_Z_EN: 1
; COMPUTE_PGM_RSRC2:TIDIG_COMP_CNT: 0
	.section	.text._ZL27rocblas_axpy_kernel_batchedIiLi128ELi8EfPKfPKDF16_PDF16_EviT3_lT4_lT_lT5_lS7_li,"axG",@progbits,_ZL27rocblas_axpy_kernel_batchedIiLi128ELi8EfPKfPKDF16_PDF16_EviT3_lT4_lT_lT5_lS7_li,comdat
	.globl	_ZL27rocblas_axpy_kernel_batchedIiLi128ELi8EfPKfPKDF16_PDF16_EviT3_lT4_lT_lT5_lS7_li ; -- Begin function _ZL27rocblas_axpy_kernel_batchedIiLi128ELi8EfPKfPKDF16_PDF16_EviT3_lT4_lT_lT5_lS7_li
	.p2align	8
	.type	_ZL27rocblas_axpy_kernel_batchedIiLi128ELi8EfPKfPKDF16_PDF16_EviT3_lT4_lT_lT5_lS7_li,@function
_ZL27rocblas_axpy_kernel_batchedIiLi128ELi8EfPKfPKDF16_PDF16_EviT3_lT4_lT_lT5_lS7_li: ; @_ZL27rocblas_axpy_kernel_batchedIiLi128ELi8EfPKfPKDF16_PDF16_EviT3_lT4_lT_lT5_lS7_li
; %bb.0:
	s_load_b32 s4, s[0:1], 0x0
	s_bfe_u32 s2, ttmp6, 0x4000c
	s_and_b32 s3, ttmp6, 15
	s_add_co_i32 s5, s2, 1
	s_getreg_b32 s2, hwreg(HW_REG_IB_STS2, 6, 4)
	s_mul_i32 s5, ttmp9, s5
	v_and_b32_e32 v1, 0x3ff, v0
	s_add_co_i32 s3, s3, s5
	v_mov_b32_e32 v3, 0
	s_wait_kmcnt 0x0
	s_ashr_i32 s5, s4, 31
	s_cmp_eq_u32 s2, 0
	s_cselect_b32 s3, ttmp9, s3
	s_delay_alu instid0(SALU_CYCLE_1) | instskip(SKIP_1) | instid1(VALU_DEP_1)
	v_lshl_add_u32 v2, s3, 7, v1
	s_mov_b32 s3, exec_lo
	v_cmpx_gt_i64_e64 s[4:5], v[2:3]
	s_cbranch_execz .LBB154_15
; %bb.1:
	s_load_b32 s16, s[0:1], 0x58
	s_bfe_u32 s3, ttmp6, 0x40014
	v_lshrrev_b32_e32 v0, 8, v0
	s_lshr_b32 s4, ttmp7, 16
	s_add_co_i32 s3, s3, 1
	s_bfe_u32 s5, ttmp6, 0x40008
	s_mul_i32 s3, s4, s3
	v_and_b32_e32 v0, 0xffc, v0
	s_add_co_i32 s5, s5, s3
	s_cmp_eq_u32 s2, 0
	s_cselect_b32 s2, s4, s5
	s_delay_alu instid0(VALU_DEP_1) | instid1(SALU_CYCLE_1)
	v_lshl_add_u32 v0, s2, 5, v0
	s_wait_kmcnt 0x0
	s_delay_alu instid0(VALU_DEP_1)
	v_cmp_gt_u32_e32 vcc_lo, s16, v0
	s_and_b32 exec_lo, exec_lo, vcc_lo
	s_cbranch_execz .LBB154_15
; %bb.2:
	s_clause 0x4
	s_load_b32 s4, s[0:1], 0x28
	s_load_b96 s[20:22], s[0:1], 0x40
	s_load_b128 s[12:15], s[0:1], 0x30
	s_load_b64 s[2:3], s[0:1], 0x50
	s_load_b32 s17, s[0:1], 0x68
	v_mov_b32_e32 v1, 0
	s_wait_kmcnt 0x0
	s_ashr_i32 s5, s4, 31
	s_ashr_i32 s7, s22, 31
	s_mov_b32 s6, s22
	v_mul_u64_e32 v[4:5], s[4:5], v[2:3]
	v_mul_u64_e32 v[6:7], s[6:7], v[2:3]
	s_load_b256 s[4:11], s[0:1], 0x8
	s_wait_kmcnt 0x0
	s_lshl_b64 s[0:1], s[10:11], 1
	s_lshl_b64 s[10:11], s[20:21], 1
	s_add_nc_u64 s[0:1], s[8:9], s[0:1]
	s_add_nc_u64 s[8:9], s[14:15], s[10:11]
	s_delay_alu instid0(VALU_DEP_2) | instskip(NEXT) | instid1(VALU_DEP_2)
	v_lshl_add_u64 v[2:3], v[4:5], 1, s[0:1]
	v_lshl_add_u64 v[4:5], v[6:7], 1, s[8:9]
	s_lshl_b32 s0, s17, 5
	s_mov_b32 s1, 0
	s_branch .LBB154_4
.LBB154_3:                              ;   in Loop: Header=BB154_4 Depth=1
	s_wait_xcnt 0x0
	s_or_b32 exec_lo, exec_lo, s8
	v_add_nc_u32_e32 v0, s0, v0
	s_delay_alu instid0(VALU_DEP_1) | instskip(SKIP_1) | instid1(SALU_CYCLE_1)
	v_cmp_le_u32_e32 vcc_lo, s16, v0
	s_or_b32 s1, vcc_lo, s1
	s_and_not1_b32 exec_lo, exec_lo, s1
	s_cbranch_execz .LBB154_15
.LBB154_4:                              ; =>This Inner Loop Header: Depth=1
	v_mul_u64_e32 v[6:7], s[6:7], v[0:1]
	s_mov_b32 s8, exec_lo
	s_delay_alu instid0(VALU_DEP_1)
	v_lshl_add_u64 v[6:7], v[6:7], 2, s[4:5]
	global_load_b32 v6, v[6:7], off
	s_wait_loadcnt 0x0
	s_wait_xcnt 0x0
	v_cmpx_neq_f32_e32 0, v6
	s_cbranch_execz .LBB154_6
; %bb.5:                                ;   in Loop: Header=BB154_4 Depth=1
	v_mul_u64_e32 v[8:9], s[2:3], v[0:1]
	v_mul_u64_e32 v[10:11], s[12:13], v[0:1]
	s_delay_alu instid0(VALU_DEP_2) | instskip(NEXT) | instid1(VALU_DEP_2)
	v_lshl_add_u64 v[8:9], v[8:9], 1, v[4:5]
	v_lshl_add_u64 v[10:11], v[10:11], 1, v[2:3]
	global_load_u16 v7, v[8:9], off
	global_load_u16 v12, v[10:11], off
	s_wait_loadcnt 0x0
	v_fma_mixlo_f16 v6, v6, v12, v7 op_sel_hi:[0,1,1]
	global_store_b16 v[8:9], v6, off
.LBB154_6:                              ;   in Loop: Header=BB154_4 Depth=1
	s_wait_xcnt 0x0
	s_or_b32 exec_lo, exec_lo, s8
	v_add_nc_u32_e32 v6, 1, v0
	s_mov_b32 s8, exec_lo
	s_delay_alu instid0(VALU_DEP_1)
	v_cmpx_gt_u32_e64 s16, v6
	s_cbranch_execz .LBB154_9
; %bb.7:                                ;   in Loop: Header=BB154_4 Depth=1
	v_mov_b32_e32 v7, v1
	s_delay_alu instid0(VALU_DEP_1) | instskip(NEXT) | instid1(VALU_DEP_1)
	v_mul_u64_e32 v[8:9], s[6:7], v[6:7]
	v_lshl_add_u64 v[8:9], v[8:9], 2, s[4:5]
	global_load_b32 v8, v[8:9], off
	s_wait_loadcnt 0x0
	v_cmp_neq_f32_e32 vcc_lo, 0, v8
	s_wait_xcnt 0x0
	s_and_b32 exec_lo, exec_lo, vcc_lo
	s_cbranch_execz .LBB154_9
; %bb.8:                                ;   in Loop: Header=BB154_4 Depth=1
	v_mul_u64_e32 v[10:11], s[2:3], v[6:7]
	v_mul_u64_e32 v[6:7], s[12:13], v[6:7]
	s_delay_alu instid0(VALU_DEP_2) | instskip(NEXT) | instid1(VALU_DEP_2)
	v_lshl_add_u64 v[10:11], v[10:11], 1, v[4:5]
	v_lshl_add_u64 v[6:7], v[6:7], 1, v[2:3]
	global_load_u16 v9, v[10:11], off
	global_load_u16 v12, v[6:7], off
	s_wait_loadcnt 0x0
	v_fma_mixlo_f16 v6, v8, v12, v9 op_sel_hi:[0,1,1]
	global_store_b16 v[10:11], v6, off
.LBB154_9:                              ;   in Loop: Header=BB154_4 Depth=1
	s_wait_xcnt 0x0
	s_or_b32 exec_lo, exec_lo, s8
	v_add_nc_u32_e32 v6, 2, v0
	s_mov_b32 s8, exec_lo
	s_delay_alu instid0(VALU_DEP_1)
	v_cmpx_gt_u32_e64 s16, v6
	s_cbranch_execz .LBB154_12
; %bb.10:                               ;   in Loop: Header=BB154_4 Depth=1
	v_mov_b32_e32 v7, v1
	s_delay_alu instid0(VALU_DEP_1) | instskip(NEXT) | instid1(VALU_DEP_1)
	v_mul_u64_e32 v[8:9], s[6:7], v[6:7]
	v_lshl_add_u64 v[8:9], v[8:9], 2, s[4:5]
	global_load_b32 v8, v[8:9], off
	s_wait_loadcnt 0x0
	v_cmp_neq_f32_e32 vcc_lo, 0, v8
	s_wait_xcnt 0x0
	s_and_b32 exec_lo, exec_lo, vcc_lo
	s_cbranch_execz .LBB154_12
; %bb.11:                               ;   in Loop: Header=BB154_4 Depth=1
	v_mul_u64_e32 v[10:11], s[2:3], v[6:7]
	v_mul_u64_e32 v[6:7], s[12:13], v[6:7]
	s_delay_alu instid0(VALU_DEP_2) | instskip(NEXT) | instid1(VALU_DEP_2)
	v_lshl_add_u64 v[10:11], v[10:11], 1, v[4:5]
	v_lshl_add_u64 v[6:7], v[6:7], 1, v[2:3]
	global_load_u16 v9, v[10:11], off
	global_load_u16 v12, v[6:7], off
	s_wait_loadcnt 0x0
	v_fma_mixlo_f16 v6, v8, v12, v9 op_sel_hi:[0,1,1]
	global_store_b16 v[10:11], v6, off
.LBB154_12:                             ;   in Loop: Header=BB154_4 Depth=1
	s_wait_xcnt 0x0
	s_or_b32 exec_lo, exec_lo, s8
	v_add_nc_u32_e32 v6, 3, v0
	s_mov_b32 s8, exec_lo
	s_delay_alu instid0(VALU_DEP_1)
	v_cmpx_gt_u32_e64 s16, v6
	s_cbranch_execz .LBB154_3
; %bb.13:                               ;   in Loop: Header=BB154_4 Depth=1
	v_mov_b32_e32 v7, v1
	s_delay_alu instid0(VALU_DEP_1) | instskip(NEXT) | instid1(VALU_DEP_1)
	v_mul_u64_e32 v[8:9], s[6:7], v[6:7]
	v_lshl_add_u64 v[8:9], v[8:9], 2, s[4:5]
	global_load_b32 v8, v[8:9], off
	s_wait_loadcnt 0x0
	v_cmp_neq_f32_e32 vcc_lo, 0, v8
	s_wait_xcnt 0x0
	s_and_b32 exec_lo, exec_lo, vcc_lo
	s_cbranch_execz .LBB154_3
; %bb.14:                               ;   in Loop: Header=BB154_4 Depth=1
	v_mul_u64_e32 v[10:11], s[2:3], v[6:7]
	v_mul_u64_e32 v[6:7], s[12:13], v[6:7]
	s_delay_alu instid0(VALU_DEP_2) | instskip(NEXT) | instid1(VALU_DEP_2)
	v_lshl_add_u64 v[10:11], v[10:11], 1, v[4:5]
	v_lshl_add_u64 v[6:7], v[6:7], 1, v[2:3]
	global_load_u16 v9, v[10:11], off
	global_load_u16 v12, v[6:7], off
	s_wait_loadcnt 0x0
	v_fma_mixlo_f16 v6, v8, v12, v9 op_sel_hi:[0,1,1]
	global_store_b16 v[10:11], v6, off
	s_branch .LBB154_3
.LBB154_15:
	s_endpgm
	.section	.rodata,"a",@progbits
	.p2align	6, 0x0
	.amdhsa_kernel _ZL27rocblas_axpy_kernel_batchedIiLi128ELi8EfPKfPKDF16_PDF16_EviT3_lT4_lT_lT5_lS7_li
		.amdhsa_group_segment_fixed_size 0
		.amdhsa_private_segment_fixed_size 0
		.amdhsa_kernarg_size 352
		.amdhsa_user_sgpr_count 2
		.amdhsa_user_sgpr_dispatch_ptr 0
		.amdhsa_user_sgpr_queue_ptr 0
		.amdhsa_user_sgpr_kernarg_segment_ptr 1
		.amdhsa_user_sgpr_dispatch_id 0
		.amdhsa_user_sgpr_kernarg_preload_length 0
		.amdhsa_user_sgpr_kernarg_preload_offset 0
		.amdhsa_user_sgpr_private_segment_size 0
		.amdhsa_wavefront_size32 1
		.amdhsa_uses_dynamic_stack 0
		.amdhsa_enable_private_segment 0
		.amdhsa_system_sgpr_workgroup_id_x 1
		.amdhsa_system_sgpr_workgroup_id_y 0
		.amdhsa_system_sgpr_workgroup_id_z 1
		.amdhsa_system_sgpr_workgroup_info 0
		.amdhsa_system_vgpr_workitem_id 1
		.amdhsa_next_free_vgpr 13
		.amdhsa_next_free_sgpr 23
		.amdhsa_named_barrier_count 0
		.amdhsa_reserve_vcc 1
		.amdhsa_float_round_mode_32 0
		.amdhsa_float_round_mode_16_64 0
		.amdhsa_float_denorm_mode_32 3
		.amdhsa_float_denorm_mode_16_64 3
		.amdhsa_fp16_overflow 0
		.amdhsa_memory_ordered 1
		.amdhsa_forward_progress 1
		.amdhsa_inst_pref_size 8
		.amdhsa_round_robin_scheduling 0
		.amdhsa_exception_fp_ieee_invalid_op 0
		.amdhsa_exception_fp_denorm_src 0
		.amdhsa_exception_fp_ieee_div_zero 0
		.amdhsa_exception_fp_ieee_overflow 0
		.amdhsa_exception_fp_ieee_underflow 0
		.amdhsa_exception_fp_ieee_inexact 0
		.amdhsa_exception_int_div_zero 0
	.end_amdhsa_kernel
	.section	.text._ZL27rocblas_axpy_kernel_batchedIiLi128ELi8EfPKfPKDF16_PDF16_EviT3_lT4_lT_lT5_lS7_li,"axG",@progbits,_ZL27rocblas_axpy_kernel_batchedIiLi128ELi8EfPKfPKDF16_PDF16_EviT3_lT4_lT_lT5_lS7_li,comdat
.Lfunc_end154:
	.size	_ZL27rocblas_axpy_kernel_batchedIiLi128ELi8EfPKfPKDF16_PDF16_EviT3_lT4_lT_lT5_lS7_li, .Lfunc_end154-_ZL27rocblas_axpy_kernel_batchedIiLi128ELi8EfPKfPKDF16_PDF16_EviT3_lT4_lT_lT5_lS7_li
                                        ; -- End function
	.set _ZL27rocblas_axpy_kernel_batchedIiLi128ELi8EfPKfPKDF16_PDF16_EviT3_lT4_lT_lT5_lS7_li.num_vgpr, 13
	.set _ZL27rocblas_axpy_kernel_batchedIiLi128ELi8EfPKfPKDF16_PDF16_EviT3_lT4_lT_lT5_lS7_li.num_agpr, 0
	.set _ZL27rocblas_axpy_kernel_batchedIiLi128ELi8EfPKfPKDF16_PDF16_EviT3_lT4_lT_lT5_lS7_li.numbered_sgpr, 23
	.set _ZL27rocblas_axpy_kernel_batchedIiLi128ELi8EfPKfPKDF16_PDF16_EviT3_lT4_lT_lT5_lS7_li.num_named_barrier, 0
	.set _ZL27rocblas_axpy_kernel_batchedIiLi128ELi8EfPKfPKDF16_PDF16_EviT3_lT4_lT_lT5_lS7_li.private_seg_size, 0
	.set _ZL27rocblas_axpy_kernel_batchedIiLi128ELi8EfPKfPKDF16_PDF16_EviT3_lT4_lT_lT5_lS7_li.uses_vcc, 1
	.set _ZL27rocblas_axpy_kernel_batchedIiLi128ELi8EfPKfPKDF16_PDF16_EviT3_lT4_lT_lT5_lS7_li.uses_flat_scratch, 0
	.set _ZL27rocblas_axpy_kernel_batchedIiLi128ELi8EfPKfPKDF16_PDF16_EviT3_lT4_lT_lT5_lS7_li.has_dyn_sized_stack, 0
	.set _ZL27rocblas_axpy_kernel_batchedIiLi128ELi8EfPKfPKDF16_PDF16_EviT3_lT4_lT_lT5_lS7_li.has_recursion, 0
	.set _ZL27rocblas_axpy_kernel_batchedIiLi128ELi8EfPKfPKDF16_PDF16_EviT3_lT4_lT_lT5_lS7_li.has_indirect_call, 0
	.section	.AMDGPU.csdata,"",@progbits
; Kernel info:
; codeLenInByte = 960
; TotalNumSgprs: 25
; NumVgprs: 13
; ScratchSize: 0
; MemoryBound: 0
; FloatMode: 240
; IeeeMode: 1
; LDSByteSize: 0 bytes/workgroup (compile time only)
; SGPRBlocks: 0
; VGPRBlocks: 0
; NumSGPRsForWavesPerEU: 25
; NumVGPRsForWavesPerEU: 13
; NamedBarCnt: 0
; Occupancy: 16
; WaveLimiterHint : 0
; COMPUTE_PGM_RSRC2:SCRATCH_EN: 0
; COMPUTE_PGM_RSRC2:USER_SGPR: 2
; COMPUTE_PGM_RSRC2:TRAP_HANDLER: 0
; COMPUTE_PGM_RSRC2:TGID_X_EN: 1
; COMPUTE_PGM_RSRC2:TGID_Y_EN: 0
; COMPUTE_PGM_RSRC2:TGID_Z_EN: 1
; COMPUTE_PGM_RSRC2:TIDIG_COMP_CNT: 1
	.section	.text._ZL27rocblas_axpy_kernel_batchedIiLi128ELi8EffPKDF16_PDF16_EviT3_lT4_lT_lT5_lS5_li,"axG",@progbits,_ZL27rocblas_axpy_kernel_batchedIiLi128ELi8EffPKDF16_PDF16_EviT3_lT4_lT_lT5_lS5_li,comdat
	.globl	_ZL27rocblas_axpy_kernel_batchedIiLi128ELi8EffPKDF16_PDF16_EviT3_lT4_lT_lT5_lS5_li ; -- Begin function _ZL27rocblas_axpy_kernel_batchedIiLi128ELi8EffPKDF16_PDF16_EviT3_lT4_lT_lT5_lS5_li
	.p2align	8
	.type	_ZL27rocblas_axpy_kernel_batchedIiLi128ELi8EffPKDF16_PDF16_EviT3_lT4_lT_lT5_lS5_li,@function
_ZL27rocblas_axpy_kernel_batchedIiLi128ELi8EffPKDF16_PDF16_EviT3_lT4_lT_lT5_lS5_li: ; @_ZL27rocblas_axpy_kernel_batchedIiLi128ELi8EffPKDF16_PDF16_EviT3_lT4_lT_lT5_lS5_li
; %bb.0:
	s_load_b64 s[2:3], s[0:1], 0x0
	s_bfe_u32 s4, ttmp6, 0x4000c
	s_and_b32 s5, ttmp6, 15
	s_add_co_i32 s6, s4, 1
	s_getreg_b32 s4, hwreg(HW_REG_IB_STS2, 6, 4)
	s_mul_i32 s6, ttmp9, s6
	v_and_b32_e32 v1, 0x3ff, v0
	s_add_co_i32 s5, s5, s6
	s_cmp_eq_u32 s4, 0
	v_mov_b32_e32 v3, 0
	s_cselect_b32 s5, ttmp9, s5
	s_delay_alu instid0(SALU_CYCLE_1)
	v_lshl_add_u32 v2, s5, 7, v1
	s_wait_kmcnt 0x0
	s_ashr_i32 s7, s2, 31
	s_mov_b32 s6, s2
	s_mov_b32 s2, exec_lo
	v_cmpx_gt_i64_e64 s[6:7], v[2:3]
	s_cbranch_execz .LBB155_12
; %bb.1:
	s_load_b32 s2, s[0:1], 0x50
	s_bfe_u32 s5, ttmp6, 0x40014
	v_lshrrev_b32_e32 v0, 8, v0
	s_lshr_b32 s6, ttmp7, 16
	s_add_co_i32 s5, s5, 1
	s_bfe_u32 s7, ttmp6, 0x40008
	s_mul_i32 s5, s6, s5
	v_and_b32_e32 v0, 0xffc, v0
	s_add_co_i32 s7, s7, s5
	s_cmp_eq_u32 s4, 0
	s_cselect_b32 s4, s6, s7
	s_delay_alu instid0(VALU_DEP_1) | instid1(SALU_CYCLE_1)
	v_lshl_add_u32 v0, s4, 5, v0
	s_wait_kmcnt 0x0
	s_delay_alu instid0(VALU_DEP_1)
	v_cmp_gt_u32_e32 vcc_lo, s2, v0
	s_and_b32 exec_lo, exec_lo, vcc_lo
	s_cbranch_execz .LBB155_12
; %bb.2:
	s_clause 0x1
	s_load_b32 s4, s[0:1], 0x20
	s_load_b96 s[16:18], s[0:1], 0x38
	v_mov_b32_e32 v1, 0
	s_wait_kmcnt 0x0
	s_ashr_i32 s5, s4, 31
	s_ashr_i32 s7, s18, 31
	s_mov_b32 s6, s18
	v_mul_u64_e32 v[4:5], s[4:5], v[2:3]
	v_mul_u64_e32 v[6:7], s[6:7], v[2:3]
	s_clause 0x3
	s_load_b128 s[12:15], s[0:1], 0x10
	s_load_b128 s[4:7], s[0:1], 0x28
	s_load_b32 s18, s[0:1], 0x60
	s_load_b64 s[8:9], s[0:1], 0x48
	s_cmp_neq_f32 s3, 0
	s_wait_xcnt 0x0
	s_mov_b32 s1, 0
	s_cselect_b32 s0, -1, 0
	s_wait_kmcnt 0x0
	s_lshl_b64 s[10:11], s[14:15], 1
	s_lshl_b64 s[14:15], s[16:17], 1
	s_add_nc_u64 s[10:11], s[12:13], s[10:11]
	s_add_nc_u64 s[6:7], s[6:7], s[14:15]
	s_delay_alu instid0(VALU_DEP_2) | instskip(NEXT) | instid1(VALU_DEP_2)
	v_lshl_add_u64 v[2:3], v[4:5], 1, s[10:11]
	v_lshl_add_u64 v[4:5], v[6:7], 1, s[6:7]
	s_lshl_b32 s6, s18, 5
	s_branch .LBB155_4
.LBB155_3:                              ;   in Loop: Header=BB155_4 Depth=1
	s_wait_xcnt 0x0
	s_or_b32 exec_lo, exec_lo, s7
	v_add_nc_u32_e32 v0, s6, v0
	s_delay_alu instid0(VALU_DEP_1) | instskip(SKIP_1) | instid1(SALU_CYCLE_1)
	v_cmp_le_u32_e32 vcc_lo, s2, v0
	s_or_b32 s1, vcc_lo, s1
	s_and_not1_b32 exec_lo, exec_lo, s1
	s_cbranch_execz .LBB155_12
.LBB155_4:                              ; =>This Inner Loop Header: Depth=1
	s_and_not1_b32 vcc_lo, exec_lo, s0
	s_cbranch_vccnz .LBB155_6
; %bb.5:                                ;   in Loop: Header=BB155_4 Depth=1
	v_mul_u64_e32 v[6:7], s[8:9], v[0:1]
	v_mul_u64_e32 v[8:9], s[4:5], v[0:1]
	s_delay_alu instid0(VALU_DEP_2) | instskip(NEXT) | instid1(VALU_DEP_2)
	v_lshl_add_u64 v[6:7], v[6:7], 1, v[4:5]
	v_lshl_add_u64 v[8:9], v[8:9], 1, v[2:3]
	global_load_u16 v10, v[6:7], off
	global_load_u16 v11, v[8:9], off
	s_wait_loadcnt 0x0
	s_wait_xcnt 0x0
	v_fma_mixlo_f16 v8, s3, v11, v10 op_sel_hi:[0,1,1]
	global_store_b16 v[6:7], v8, off
.LBB155_6:                              ;   in Loop: Header=BB155_4 Depth=1
	s_wait_xcnt 0x0
	v_add_nc_u32_e32 v6, 1, v0
	s_delay_alu instid0(VALU_DEP_1) | instskip(SKIP_1) | instid1(SALU_CYCLE_1)
	v_cmp_gt_u32_e32 vcc_lo, s2, v6
	s_and_b32 s10, s0, vcc_lo
	s_and_saveexec_b32 s7, s10
	s_cbranch_execz .LBB155_8
; %bb.7:                                ;   in Loop: Header=BB155_4 Depth=1
	v_mov_b32_e32 v7, v1
	s_delay_alu instid0(VALU_DEP_1) | instskip(SKIP_1) | instid1(VALU_DEP_2)
	v_mul_u64_e32 v[8:9], s[8:9], v[6:7]
	v_mul_u64_e32 v[6:7], s[4:5], v[6:7]
	v_lshl_add_u64 v[8:9], v[8:9], 1, v[4:5]
	s_delay_alu instid0(VALU_DEP_2)
	v_lshl_add_u64 v[6:7], v[6:7], 1, v[2:3]
	global_load_u16 v10, v[8:9], off
	global_load_u16 v11, v[6:7], off
	s_wait_loadcnt 0x0
	v_fma_mixlo_f16 v6, s3, v11, v10 op_sel_hi:[0,1,1]
	global_store_b16 v[8:9], v6, off
.LBB155_8:                              ;   in Loop: Header=BB155_4 Depth=1
	s_wait_xcnt 0x0
	s_or_b32 exec_lo, exec_lo, s7
	v_add_nc_u32_e32 v6, 2, v0
	s_delay_alu instid0(VALU_DEP_1) | instskip(SKIP_1) | instid1(SALU_CYCLE_1)
	v_cmp_gt_u32_e32 vcc_lo, s2, v6
	s_and_b32 s10, s0, vcc_lo
	s_and_saveexec_b32 s7, s10
	s_cbranch_execz .LBB155_10
; %bb.9:                                ;   in Loop: Header=BB155_4 Depth=1
	v_mov_b32_e32 v7, v1
	s_delay_alu instid0(VALU_DEP_1) | instskip(SKIP_1) | instid1(VALU_DEP_2)
	v_mul_u64_e32 v[8:9], s[8:9], v[6:7]
	v_mul_u64_e32 v[6:7], s[4:5], v[6:7]
	v_lshl_add_u64 v[8:9], v[8:9], 1, v[4:5]
	s_delay_alu instid0(VALU_DEP_2)
	v_lshl_add_u64 v[6:7], v[6:7], 1, v[2:3]
	global_load_u16 v10, v[8:9], off
	global_load_u16 v11, v[6:7], off
	s_wait_loadcnt 0x0
	v_fma_mixlo_f16 v6, s3, v11, v10 op_sel_hi:[0,1,1]
	global_store_b16 v[8:9], v6, off
.LBB155_10:                             ;   in Loop: Header=BB155_4 Depth=1
	s_wait_xcnt 0x0
	s_or_b32 exec_lo, exec_lo, s7
	v_add_nc_u32_e32 v6, 3, v0
	s_delay_alu instid0(VALU_DEP_1) | instskip(SKIP_1) | instid1(SALU_CYCLE_1)
	v_cmp_gt_u32_e32 vcc_lo, s2, v6
	s_and_b32 s10, s0, vcc_lo
	s_and_saveexec_b32 s7, s10
	s_cbranch_execz .LBB155_3
; %bb.11:                               ;   in Loop: Header=BB155_4 Depth=1
	v_mov_b32_e32 v7, v1
	s_delay_alu instid0(VALU_DEP_1) | instskip(SKIP_1) | instid1(VALU_DEP_2)
	v_mul_u64_e32 v[8:9], s[8:9], v[6:7]
	v_mul_u64_e32 v[6:7], s[4:5], v[6:7]
	v_lshl_add_u64 v[8:9], v[8:9], 1, v[4:5]
	s_delay_alu instid0(VALU_DEP_2)
	v_lshl_add_u64 v[6:7], v[6:7], 1, v[2:3]
	global_load_u16 v10, v[8:9], off
	global_load_u16 v11, v[6:7], off
	s_wait_loadcnt 0x0
	v_fma_mixlo_f16 v6, s3, v11, v10 op_sel_hi:[0,1,1]
	global_store_b16 v[8:9], v6, off
	s_branch .LBB155_3
.LBB155_12:
	s_endpgm
	.section	.rodata,"a",@progbits
	.p2align	6, 0x0
	.amdhsa_kernel _ZL27rocblas_axpy_kernel_batchedIiLi128ELi8EffPKDF16_PDF16_EviT3_lT4_lT_lT5_lS5_li
		.amdhsa_group_segment_fixed_size 0
		.amdhsa_private_segment_fixed_size 0
		.amdhsa_kernarg_size 344
		.amdhsa_user_sgpr_count 2
		.amdhsa_user_sgpr_dispatch_ptr 0
		.amdhsa_user_sgpr_queue_ptr 0
		.amdhsa_user_sgpr_kernarg_segment_ptr 1
		.amdhsa_user_sgpr_dispatch_id 0
		.amdhsa_user_sgpr_kernarg_preload_length 0
		.amdhsa_user_sgpr_kernarg_preload_offset 0
		.amdhsa_user_sgpr_private_segment_size 0
		.amdhsa_wavefront_size32 1
		.amdhsa_uses_dynamic_stack 0
		.amdhsa_enable_private_segment 0
		.amdhsa_system_sgpr_workgroup_id_x 1
		.amdhsa_system_sgpr_workgroup_id_y 0
		.amdhsa_system_sgpr_workgroup_id_z 1
		.amdhsa_system_sgpr_workgroup_info 0
		.amdhsa_system_vgpr_workitem_id 1
		.amdhsa_next_free_vgpr 12
		.amdhsa_next_free_sgpr 19
		.amdhsa_named_barrier_count 0
		.amdhsa_reserve_vcc 1
		.amdhsa_float_round_mode_32 0
		.amdhsa_float_round_mode_16_64 0
		.amdhsa_float_denorm_mode_32 3
		.amdhsa_float_denorm_mode_16_64 3
		.amdhsa_fp16_overflow 0
		.amdhsa_memory_ordered 1
		.amdhsa_forward_progress 1
		.amdhsa_inst_pref_size 7
		.amdhsa_round_robin_scheduling 0
		.amdhsa_exception_fp_ieee_invalid_op 0
		.amdhsa_exception_fp_denorm_src 0
		.amdhsa_exception_fp_ieee_div_zero 0
		.amdhsa_exception_fp_ieee_overflow 0
		.amdhsa_exception_fp_ieee_underflow 0
		.amdhsa_exception_fp_ieee_inexact 0
		.amdhsa_exception_int_div_zero 0
	.end_amdhsa_kernel
	.section	.text._ZL27rocblas_axpy_kernel_batchedIiLi128ELi8EffPKDF16_PDF16_EviT3_lT4_lT_lT5_lS5_li,"axG",@progbits,_ZL27rocblas_axpy_kernel_batchedIiLi128ELi8EffPKDF16_PDF16_EviT3_lT4_lT_lT5_lS5_li,comdat
.Lfunc_end155:
	.size	_ZL27rocblas_axpy_kernel_batchedIiLi128ELi8EffPKDF16_PDF16_EviT3_lT4_lT_lT5_lS5_li, .Lfunc_end155-_ZL27rocblas_axpy_kernel_batchedIiLi128ELi8EffPKDF16_PDF16_EviT3_lT4_lT_lT5_lS5_li
                                        ; -- End function
	.set _ZL27rocblas_axpy_kernel_batchedIiLi128ELi8EffPKDF16_PDF16_EviT3_lT4_lT_lT5_lS5_li.num_vgpr, 12
	.set _ZL27rocblas_axpy_kernel_batchedIiLi128ELi8EffPKDF16_PDF16_EviT3_lT4_lT_lT5_lS5_li.num_agpr, 0
	.set _ZL27rocblas_axpy_kernel_batchedIiLi128ELi8EffPKDF16_PDF16_EviT3_lT4_lT_lT5_lS5_li.numbered_sgpr, 19
	.set _ZL27rocblas_axpy_kernel_batchedIiLi128ELi8EffPKDF16_PDF16_EviT3_lT4_lT_lT5_lS5_li.num_named_barrier, 0
	.set _ZL27rocblas_axpy_kernel_batchedIiLi128ELi8EffPKDF16_PDF16_EviT3_lT4_lT_lT5_lS5_li.private_seg_size, 0
	.set _ZL27rocblas_axpy_kernel_batchedIiLi128ELi8EffPKDF16_PDF16_EviT3_lT4_lT_lT5_lS5_li.uses_vcc, 1
	.set _ZL27rocblas_axpy_kernel_batchedIiLi128ELi8EffPKDF16_PDF16_EviT3_lT4_lT_lT5_lS5_li.uses_flat_scratch, 0
	.set _ZL27rocblas_axpy_kernel_batchedIiLi128ELi8EffPKDF16_PDF16_EviT3_lT4_lT_lT5_lS5_li.has_dyn_sized_stack, 0
	.set _ZL27rocblas_axpy_kernel_batchedIiLi128ELi8EffPKDF16_PDF16_EviT3_lT4_lT_lT5_lS5_li.has_recursion, 0
	.set _ZL27rocblas_axpy_kernel_batchedIiLi128ELi8EffPKDF16_PDF16_EviT3_lT4_lT_lT5_lS5_li.has_indirect_call, 0
	.section	.AMDGPU.csdata,"",@progbits
; Kernel info:
; codeLenInByte = 808
; TotalNumSgprs: 21
; NumVgprs: 12
; ScratchSize: 0
; MemoryBound: 0
; FloatMode: 240
; IeeeMode: 1
; LDSByteSize: 0 bytes/workgroup (compile time only)
; SGPRBlocks: 0
; VGPRBlocks: 0
; NumSGPRsForWavesPerEU: 21
; NumVGPRsForWavesPerEU: 12
; NamedBarCnt: 0
; Occupancy: 16
; WaveLimiterHint : 0
; COMPUTE_PGM_RSRC2:SCRATCH_EN: 0
; COMPUTE_PGM_RSRC2:USER_SGPR: 2
; COMPUTE_PGM_RSRC2:TRAP_HANDLER: 0
; COMPUTE_PGM_RSRC2:TGID_X_EN: 1
; COMPUTE_PGM_RSRC2:TGID_Y_EN: 0
; COMPUTE_PGM_RSRC2:TGID_Z_EN: 1
; COMPUTE_PGM_RSRC2:TIDIG_COMP_CNT: 1
	.section	.text._ZL19rocblas_axpy_kernelIiLi256EfPKfPKDF16_PDF16_EviT2_lT3_lT_lT4_lS7_li,"axG",@progbits,_ZL19rocblas_axpy_kernelIiLi256EfPKfPKDF16_PDF16_EviT2_lT3_lT_lT4_lS7_li,comdat
	.globl	_ZL19rocblas_axpy_kernelIiLi256EfPKfPKDF16_PDF16_EviT2_lT3_lT_lT4_lS7_li ; -- Begin function _ZL19rocblas_axpy_kernelIiLi256EfPKfPKDF16_PDF16_EviT2_lT3_lT_lT4_lS7_li
	.p2align	8
	.type	_ZL19rocblas_axpy_kernelIiLi256EfPKfPKDF16_PDF16_EviT2_lT3_lT_lT4_lS7_li,@function
_ZL19rocblas_axpy_kernelIiLi256EfPKfPKDF16_PDF16_EviT2_lT3_lT_lT4_lS7_li: ; @_ZL19rocblas_axpy_kernelIiLi256EfPKfPKDF16_PDF16_EviT2_lT3_lT_lT4_lS7_li
; %bb.0:
	s_load_b32 s18, s[0:1], 0x58
	s_bfe_u32 s2, ttmp6, 0x40014
	s_lshr_b32 s3, ttmp7, 16
	s_add_co_i32 s2, s2, 1
	s_bfe_u32 s4, ttmp6, 0x40008
	s_mul_i32 s2, s3, s2
	s_getreg_b32 s12, hwreg(HW_REG_IB_STS2, 6, 4)
	s_add_co_i32 s4, s4, s2
	s_cmp_eq_u32 s12, 0
	s_cselect_b32 s2, s3, s4
	s_mov_b32 s3, 0
	s_wait_kmcnt 0x0
	s_cmp_ge_u32 s2, s18
	s_cbranch_scc1 .LBB156_5
; %bb.1:
	s_clause 0x3
	s_load_b32 s24, s[0:1], 0x0
	s_load_b32 s14, s[0:1], 0x28
	s_load_b96 s[20:22], s[0:1], 0x40
	s_load_b256 s[4:11], s[0:1], 0x8
	s_bfe_u32 s13, ttmp6, 0x4000c
	s_and_b32 s15, ttmp6, 15
	s_add_co_i32 s13, s13, 1
	v_mov_b32_e32 v1, 0
	s_mul_i32 s13, ttmp9, s13
	s_load_b64 s[16:17], s[0:1], 0x50
	s_add_co_i32 s19, s15, s13
	s_wait_kmcnt 0x0
	s_ashr_i32 s25, s24, 31
	s_ashr_i32 s15, s14, 31
	;; [unrolled: 1-line block ×3, first 2 shown]
	s_lshl_b64 s[20:21], s[20:21], 1
	s_lshl_b64 s[10:11], s[10:11], 1
	s_cmp_eq_u32 s12, 0
	s_add_nc_u64 s[8:9], s[8:9], s[10:11]
	s_cselect_b32 s12, ttmp9, s19
	s_delay_alu instid0(SALU_CYCLE_1) | instskip(SKIP_1) | instid1(VALU_DEP_1)
	v_lshl_or_b32 v0, s12, 8, v0
	s_mov_b32 s12, s22
	v_mul_u64_e32 v[2:3], s[14:15], v[0:1]
	v_mul_u64_e32 v[4:5], s[12:13], v[0:1]
	s_load_b128 s[12:15], s[0:1], 0x30
	v_cmp_gt_i64_e32 vcc_lo, s[24:25], v[0:1]
	s_wait_kmcnt 0x0
	s_add_nc_u64 s[0:1], s[14:15], s[20:21]
	s_delay_alu instid0(VALU_DEP_3) | instskip(NEXT) | instid1(VALU_DEP_3)
	v_lshl_add_u64 v[0:1], v[2:3], 1, s[8:9]
	v_lshl_add_u64 v[2:3], v[4:5], 1, s[0:1]
	s_branch .LBB156_3
.LBB156_2:                              ;   in Loop: Header=BB156_3 Depth=1
	s_wait_xcnt 0x0
	s_or_b32 exec_lo, exec_lo, s1
	s_add_co_i32 s2, s2, 0x10000
	s_delay_alu instid0(SALU_CYCLE_1)
	s_cmp_lt_u32 s2, s18
	s_cbranch_scc0 .LBB156_5
.LBB156_3:                              ; =>This Inner Loop Header: Depth=1
	s_mul_u64 s[0:1], s[6:7], s[2:3]
	s_delay_alu instid0(SALU_CYCLE_1) | instskip(NEXT) | instid1(SALU_CYCLE_1)
	s_lshl_b64 s[0:1], s[0:1], 2
	s_add_nc_u64 s[0:1], s[4:5], s[0:1]
	s_load_b32 s0, s[0:1], 0x0
	s_wait_kmcnt 0x0
	s_cmp_neq_f32 s0, 0
	s_wait_xcnt 0x0
	s_cselect_b32 s1, -1, 0
	s_delay_alu instid0(SALU_CYCLE_1) | instskip(NEXT) | instid1(SALU_CYCLE_1)
	s_and_b32 s8, vcc_lo, s1
	s_and_saveexec_b32 s1, s8
	s_cbranch_execz .LBB156_2
; %bb.4:                                ;   in Loop: Header=BB156_3 Depth=1
	s_mul_u64 s[8:9], s[16:17], s[2:3]
	s_mul_u64 s[10:11], s[12:13], s[2:3]
	v_lshl_add_u64 v[4:5], s[8:9], 1, v[2:3]
	v_lshl_add_u64 v[6:7], s[10:11], 1, v[0:1]
	global_load_u16 v8, v[4:5], off
	global_load_u16 v9, v[6:7], off
	s_wait_loadcnt 0x0
	s_wait_xcnt 0x0
	v_fma_mixlo_f16 v6, s0, v9, v8 op_sel_hi:[0,1,1]
	global_store_b16 v[4:5], v6, off
	s_branch .LBB156_2
.LBB156_5:
	s_endpgm
	.section	.rodata,"a",@progbits
	.p2align	6, 0x0
	.amdhsa_kernel _ZL19rocblas_axpy_kernelIiLi256EfPKfPKDF16_PDF16_EviT2_lT3_lT_lT4_lS7_li
		.amdhsa_group_segment_fixed_size 0
		.amdhsa_private_segment_fixed_size 0
		.amdhsa_kernarg_size 92
		.amdhsa_user_sgpr_count 2
		.amdhsa_user_sgpr_dispatch_ptr 0
		.amdhsa_user_sgpr_queue_ptr 0
		.amdhsa_user_sgpr_kernarg_segment_ptr 1
		.amdhsa_user_sgpr_dispatch_id 0
		.amdhsa_user_sgpr_kernarg_preload_length 0
		.amdhsa_user_sgpr_kernarg_preload_offset 0
		.amdhsa_user_sgpr_private_segment_size 0
		.amdhsa_wavefront_size32 1
		.amdhsa_uses_dynamic_stack 0
		.amdhsa_enable_private_segment 0
		.amdhsa_system_sgpr_workgroup_id_x 1
		.amdhsa_system_sgpr_workgroup_id_y 0
		.amdhsa_system_sgpr_workgroup_id_z 1
		.amdhsa_system_sgpr_workgroup_info 0
		.amdhsa_system_vgpr_workitem_id 0
		.amdhsa_next_free_vgpr 10
		.amdhsa_next_free_sgpr 26
		.amdhsa_named_barrier_count 0
		.amdhsa_reserve_vcc 1
		.amdhsa_float_round_mode_32 0
		.amdhsa_float_round_mode_16_64 0
		.amdhsa_float_denorm_mode_32 3
		.amdhsa_float_denorm_mode_16_64 3
		.amdhsa_fp16_overflow 0
		.amdhsa_memory_ordered 1
		.amdhsa_forward_progress 1
		.amdhsa_inst_pref_size 4
		.amdhsa_round_robin_scheduling 0
		.amdhsa_exception_fp_ieee_invalid_op 0
		.amdhsa_exception_fp_denorm_src 0
		.amdhsa_exception_fp_ieee_div_zero 0
		.amdhsa_exception_fp_ieee_overflow 0
		.amdhsa_exception_fp_ieee_underflow 0
		.amdhsa_exception_fp_ieee_inexact 0
		.amdhsa_exception_int_div_zero 0
	.end_amdhsa_kernel
	.section	.text._ZL19rocblas_axpy_kernelIiLi256EfPKfPKDF16_PDF16_EviT2_lT3_lT_lT4_lS7_li,"axG",@progbits,_ZL19rocblas_axpy_kernelIiLi256EfPKfPKDF16_PDF16_EviT2_lT3_lT_lT4_lS7_li,comdat
.Lfunc_end156:
	.size	_ZL19rocblas_axpy_kernelIiLi256EfPKfPKDF16_PDF16_EviT2_lT3_lT_lT4_lS7_li, .Lfunc_end156-_ZL19rocblas_axpy_kernelIiLi256EfPKfPKDF16_PDF16_EviT2_lT3_lT_lT4_lS7_li
                                        ; -- End function
	.set _ZL19rocblas_axpy_kernelIiLi256EfPKfPKDF16_PDF16_EviT2_lT3_lT_lT4_lS7_li.num_vgpr, 10
	.set _ZL19rocblas_axpy_kernelIiLi256EfPKfPKDF16_PDF16_EviT2_lT3_lT_lT4_lS7_li.num_agpr, 0
	.set _ZL19rocblas_axpy_kernelIiLi256EfPKfPKDF16_PDF16_EviT2_lT3_lT_lT4_lS7_li.numbered_sgpr, 26
	.set _ZL19rocblas_axpy_kernelIiLi256EfPKfPKDF16_PDF16_EviT2_lT3_lT_lT4_lS7_li.num_named_barrier, 0
	.set _ZL19rocblas_axpy_kernelIiLi256EfPKfPKDF16_PDF16_EviT2_lT3_lT_lT4_lS7_li.private_seg_size, 0
	.set _ZL19rocblas_axpy_kernelIiLi256EfPKfPKDF16_PDF16_EviT2_lT3_lT_lT4_lS7_li.uses_vcc, 1
	.set _ZL19rocblas_axpy_kernelIiLi256EfPKfPKDF16_PDF16_EviT2_lT3_lT_lT4_lS7_li.uses_flat_scratch, 0
	.set _ZL19rocblas_axpy_kernelIiLi256EfPKfPKDF16_PDF16_EviT2_lT3_lT_lT4_lS7_li.has_dyn_sized_stack, 0
	.set _ZL19rocblas_axpy_kernelIiLi256EfPKfPKDF16_PDF16_EviT2_lT3_lT_lT4_lS7_li.has_recursion, 0
	.set _ZL19rocblas_axpy_kernelIiLi256EfPKfPKDF16_PDF16_EviT2_lT3_lT_lT4_lS7_li.has_indirect_call, 0
	.section	.AMDGPU.csdata,"",@progbits
; Kernel info:
; codeLenInByte = 412
; TotalNumSgprs: 28
; NumVgprs: 10
; ScratchSize: 0
; MemoryBound: 0
; FloatMode: 240
; IeeeMode: 1
; LDSByteSize: 0 bytes/workgroup (compile time only)
; SGPRBlocks: 0
; VGPRBlocks: 0
; NumSGPRsForWavesPerEU: 28
; NumVGPRsForWavesPerEU: 10
; NamedBarCnt: 0
; Occupancy: 16
; WaveLimiterHint : 0
; COMPUTE_PGM_RSRC2:SCRATCH_EN: 0
; COMPUTE_PGM_RSRC2:USER_SGPR: 2
; COMPUTE_PGM_RSRC2:TRAP_HANDLER: 0
; COMPUTE_PGM_RSRC2:TGID_X_EN: 1
; COMPUTE_PGM_RSRC2:TGID_Y_EN: 0
; COMPUTE_PGM_RSRC2:TGID_Z_EN: 1
; COMPUTE_PGM_RSRC2:TIDIG_COMP_CNT: 0
	.section	.text._ZL19rocblas_axpy_kernelIiLi256EffPKDF16_PDF16_EviT2_lT3_lT_lT4_lS5_li,"axG",@progbits,_ZL19rocblas_axpy_kernelIiLi256EffPKDF16_PDF16_EviT2_lT3_lT_lT4_lS5_li,comdat
	.globl	_ZL19rocblas_axpy_kernelIiLi256EffPKDF16_PDF16_EviT2_lT3_lT_lT4_lS5_li ; -- Begin function _ZL19rocblas_axpy_kernelIiLi256EffPKDF16_PDF16_EviT2_lT3_lT_lT4_lS5_li
	.p2align	8
	.type	_ZL19rocblas_axpy_kernelIiLi256EffPKDF16_PDF16_EviT2_lT3_lT_lT4_lS5_li,@function
_ZL19rocblas_axpy_kernelIiLi256EffPKDF16_PDF16_EviT2_lT3_lT_lT4_lS5_li: ; @_ZL19rocblas_axpy_kernelIiLi256EffPKDF16_PDF16_EviT2_lT3_lT_lT4_lS5_li
; %bb.0:
	s_load_b32 s10, s[0:1], 0x50
	s_bfe_u32 s2, ttmp6, 0x40014
	s_lshr_b32 s3, ttmp7, 16
	s_add_co_i32 s2, s2, 1
	s_bfe_u32 s5, ttmp6, 0x40008
	s_mul_i32 s4, s3, s2
	s_getreg_b32 s2, hwreg(HW_REG_IB_STS2, 6, 4)
	s_add_co_i32 s5, s5, s4
	s_cmp_eq_u32 s2, 0
	s_cselect_b32 s4, s3, s5
	s_mov_b32 s5, 0
	s_wait_kmcnt 0x0
	s_cmp_ge_u32 s4, s10
	s_cbranch_scc1 .LBB157_5
; %bb.1:
	s_clause 0x2
	s_load_b32 s20, s[0:1], 0x20
	s_load_b96 s[16:18], s[0:1], 0x38
	s_load_b128 s[12:15], s[0:1], 0x10
	s_bfe_u32 s3, ttmp6, 0x4000c
	s_and_b32 s11, ttmp6, 15
	s_add_co_i32 s3, s3, 1
	v_mov_b32_e32 v1, 0
	s_mul_i32 s3, ttmp9, s3
	s_clause 0x1
	s_load_b64 s[6:7], s[0:1], 0x0
	s_load_b64 s[8:9], s[0:1], 0x48
	s_add_co_i32 s11, s11, s3
	s_wait_kmcnt 0x0
	s_ashr_i32 s21, s20, 31
	s_ashr_i32 s3, s18, 31
	s_lshl_b64 s[16:17], s[16:17], 1
	s_lshl_b64 s[14:15], s[14:15], 1
	s_cmp_eq_u32 s2, 0
	s_add_nc_u64 s[12:13], s[12:13], s[14:15]
	s_cselect_b32 s2, ttmp9, s11
	s_delay_alu instid0(SALU_CYCLE_1) | instskip(SKIP_3) | instid1(VALU_DEP_1)
	v_lshl_or_b32 v0, s2, 8, v0
	s_mov_b32 s2, s18
	s_cmp_neq_f32 s7, 0
	s_mov_b32 s18, s6
	v_mul_u64_e32 v[2:3], s[20:21], v[0:1]
	v_mul_u64_e32 v[4:5], s[2:3], v[0:1]
	s_load_b128 s[0:3], s[0:1], 0x28
	s_cselect_b32 s11, -1, 0
	s_ashr_i32 s19, s6, 31
	s_delay_alu instid0(SALU_CYCLE_1) | instskip(SKIP_2) | instid1(VALU_DEP_3)
	v_cmp_gt_i64_e32 vcc_lo, s[18:19], v[0:1]
	s_wait_kmcnt 0x0
	s_add_nc_u64 s[2:3], s[2:3], s[16:17]
	v_lshl_add_u64 v[0:1], v[2:3], 1, s[12:13]
	s_delay_alu instid0(VALU_DEP_3)
	v_lshl_add_u64 v[2:3], v[4:5], 1, s[2:3]
	s_and_b32 s2, s11, vcc_lo
	s_branch .LBB157_3
.LBB157_2:                              ;   in Loop: Header=BB157_3 Depth=1
	s_wait_xcnt 0x0
	s_or_b32 exec_lo, exec_lo, s3
	s_add_co_i32 s4, s4, 0x10000
	s_delay_alu instid0(SALU_CYCLE_1)
	s_cmp_lt_u32 s4, s10
	s_cbranch_scc0 .LBB157_5
.LBB157_3:                              ; =>This Inner Loop Header: Depth=1
	s_and_saveexec_b32 s3, s2
	s_cbranch_execz .LBB157_2
; %bb.4:                                ;   in Loop: Header=BB157_3 Depth=1
	s_mul_u64 s[12:13], s[8:9], s[4:5]
	s_mul_u64 s[14:15], s[0:1], s[4:5]
	v_lshl_add_u64 v[4:5], s[12:13], 1, v[2:3]
	v_lshl_add_u64 v[6:7], s[14:15], 1, v[0:1]
	global_load_u16 v8, v[4:5], off
	global_load_u16 v9, v[6:7], off
	s_wait_loadcnt 0x0
	s_wait_xcnt 0x0
	v_fma_mixlo_f16 v6, s7, v9, v8 op_sel_hi:[0,1,1]
	global_store_b16 v[4:5], v6, off
	s_branch .LBB157_2
.LBB157_5:
	s_endpgm
	.section	.rodata,"a",@progbits
	.p2align	6, 0x0
	.amdhsa_kernel _ZL19rocblas_axpy_kernelIiLi256EffPKDF16_PDF16_EviT2_lT3_lT_lT4_lS5_li
		.amdhsa_group_segment_fixed_size 0
		.amdhsa_private_segment_fixed_size 0
		.amdhsa_kernarg_size 84
		.amdhsa_user_sgpr_count 2
		.amdhsa_user_sgpr_dispatch_ptr 0
		.amdhsa_user_sgpr_queue_ptr 0
		.amdhsa_user_sgpr_kernarg_segment_ptr 1
		.amdhsa_user_sgpr_dispatch_id 0
		.amdhsa_user_sgpr_kernarg_preload_length 0
		.amdhsa_user_sgpr_kernarg_preload_offset 0
		.amdhsa_user_sgpr_private_segment_size 0
		.amdhsa_wavefront_size32 1
		.amdhsa_uses_dynamic_stack 0
		.amdhsa_enable_private_segment 0
		.amdhsa_system_sgpr_workgroup_id_x 1
		.amdhsa_system_sgpr_workgroup_id_y 0
		.amdhsa_system_sgpr_workgroup_id_z 1
		.amdhsa_system_sgpr_workgroup_info 0
		.amdhsa_system_vgpr_workitem_id 0
		.amdhsa_next_free_vgpr 10
		.amdhsa_next_free_sgpr 22
		.amdhsa_named_barrier_count 0
		.amdhsa_reserve_vcc 1
		.amdhsa_float_round_mode_32 0
		.amdhsa_float_round_mode_16_64 0
		.amdhsa_float_denorm_mode_32 3
		.amdhsa_float_denorm_mode_16_64 3
		.amdhsa_fp16_overflow 0
		.amdhsa_memory_ordered 1
		.amdhsa_forward_progress 1
		.amdhsa_inst_pref_size 4
		.amdhsa_round_robin_scheduling 0
		.amdhsa_exception_fp_ieee_invalid_op 0
		.amdhsa_exception_fp_denorm_src 0
		.amdhsa_exception_fp_ieee_div_zero 0
		.amdhsa_exception_fp_ieee_overflow 0
		.amdhsa_exception_fp_ieee_underflow 0
		.amdhsa_exception_fp_ieee_inexact 0
		.amdhsa_exception_int_div_zero 0
	.end_amdhsa_kernel
	.section	.text._ZL19rocblas_axpy_kernelIiLi256EffPKDF16_PDF16_EviT2_lT3_lT_lT4_lS5_li,"axG",@progbits,_ZL19rocblas_axpy_kernelIiLi256EffPKDF16_PDF16_EviT2_lT3_lT_lT4_lS5_li,comdat
.Lfunc_end157:
	.size	_ZL19rocblas_axpy_kernelIiLi256EffPKDF16_PDF16_EviT2_lT3_lT_lT4_lS5_li, .Lfunc_end157-_ZL19rocblas_axpy_kernelIiLi256EffPKDF16_PDF16_EviT2_lT3_lT_lT4_lS5_li
                                        ; -- End function
	.set _ZL19rocblas_axpy_kernelIiLi256EffPKDF16_PDF16_EviT2_lT3_lT_lT4_lS5_li.num_vgpr, 10
	.set _ZL19rocblas_axpy_kernelIiLi256EffPKDF16_PDF16_EviT2_lT3_lT_lT4_lS5_li.num_agpr, 0
	.set _ZL19rocblas_axpy_kernelIiLi256EffPKDF16_PDF16_EviT2_lT3_lT_lT4_lS5_li.numbered_sgpr, 22
	.set _ZL19rocblas_axpy_kernelIiLi256EffPKDF16_PDF16_EviT2_lT3_lT_lT4_lS5_li.num_named_barrier, 0
	.set _ZL19rocblas_axpy_kernelIiLi256EffPKDF16_PDF16_EviT2_lT3_lT_lT4_lS5_li.private_seg_size, 0
	.set _ZL19rocblas_axpy_kernelIiLi256EffPKDF16_PDF16_EviT2_lT3_lT_lT4_lS5_li.uses_vcc, 1
	.set _ZL19rocblas_axpy_kernelIiLi256EffPKDF16_PDF16_EviT2_lT3_lT_lT4_lS5_li.uses_flat_scratch, 0
	.set _ZL19rocblas_axpy_kernelIiLi256EffPKDF16_PDF16_EviT2_lT3_lT_lT4_lS5_li.has_dyn_sized_stack, 0
	.set _ZL19rocblas_axpy_kernelIiLi256EffPKDF16_PDF16_EviT2_lT3_lT_lT4_lS5_li.has_recursion, 0
	.set _ZL19rocblas_axpy_kernelIiLi256EffPKDF16_PDF16_EviT2_lT3_lT_lT4_lS5_li.has_indirect_call, 0
	.section	.AMDGPU.csdata,"",@progbits
; Kernel info:
; codeLenInByte = 388
; TotalNumSgprs: 24
; NumVgprs: 10
; ScratchSize: 0
; MemoryBound: 0
; FloatMode: 240
; IeeeMode: 1
; LDSByteSize: 0 bytes/workgroup (compile time only)
; SGPRBlocks: 0
; VGPRBlocks: 0
; NumSGPRsForWavesPerEU: 24
; NumVGPRsForWavesPerEU: 10
; NamedBarCnt: 0
; Occupancy: 16
; WaveLimiterHint : 0
; COMPUTE_PGM_RSRC2:SCRATCH_EN: 0
; COMPUTE_PGM_RSRC2:USER_SGPR: 2
; COMPUTE_PGM_RSRC2:TRAP_HANDLER: 0
; COMPUTE_PGM_RSRC2:TGID_X_EN: 1
; COMPUTE_PGM_RSRC2:TGID_Y_EN: 0
; COMPUTE_PGM_RSRC2:TGID_Z_EN: 1
; COMPUTE_PGM_RSRC2:TIDIG_COMP_CNT: 0
	.section	.text._ZL19rocblas_axpy_kernelIlLi256EfPKfPKDF16_PDF16_EviT2_lT3_lT_lT4_lS7_li,"axG",@progbits,_ZL19rocblas_axpy_kernelIlLi256EfPKfPKDF16_PDF16_EviT2_lT3_lT_lT4_lS7_li,comdat
	.globl	_ZL19rocblas_axpy_kernelIlLi256EfPKfPKDF16_PDF16_EviT2_lT3_lT_lT4_lS7_li ; -- Begin function _ZL19rocblas_axpy_kernelIlLi256EfPKfPKDF16_PDF16_EviT2_lT3_lT_lT4_lS7_li
	.p2align	8
	.type	_ZL19rocblas_axpy_kernelIlLi256EfPKfPKDF16_PDF16_EviT2_lT3_lT_lT4_lS7_li,@function
_ZL19rocblas_axpy_kernelIlLi256EfPKfPKDF16_PDF16_EviT2_lT3_lT_lT4_lS7_li: ; @_ZL19rocblas_axpy_kernelIlLi256EfPKfPKDF16_PDF16_EviT2_lT3_lT_lT4_lS7_li
; %bb.0:
	s_load_b32 s16, s[0:1], 0x58
	s_bfe_u32 s2, ttmp6, 0x40014
	s_lshr_b32 s3, ttmp7, 16
	s_add_co_i32 s2, s2, 1
	s_bfe_u32 s4, ttmp6, 0x40008
	s_mul_i32 s2, s3, s2
	s_getreg_b32 s17, hwreg(HW_REG_IB_STS2, 6, 4)
	s_add_co_i32 s4, s4, s2
	s_cmp_eq_u32 s17, 0
	s_cselect_b32 s2, s3, s4
	s_mov_b32 s3, 0
	s_wait_kmcnt 0x0
	s_cmp_ge_u32 s2, s16
	s_cbranch_scc1 .LBB158_5
; %bb.1:
	s_clause 0x2
	s_load_b32 s18, s[0:1], 0x0
	s_load_b256 s[4:11], s[0:1], 0x30
	s_load_b128 s[20:23], s[0:1], 0x20
	s_bfe_u32 s12, ttmp6, 0x4000c
	s_and_b32 s19, ttmp6, 15
	s_add_co_i32 s12, s12, 1
	v_mov_b32_e32 v1, 0
	s_mul_i32 s24, ttmp9, s12
	s_load_b128 s[12:15], s[0:1], 0x8
	s_add_co_i32 s26, s19, s24
	s_wait_kmcnt 0x0
	s_ashr_i32 s19, s18, 31
	s_lshl_b64 s[24:25], s[8:9], 1
	s_lshl_b64 s[20:21], s[20:21], 1
	s_cmp_eq_u32 s17, 0
	s_cselect_b32 s8, ttmp9, s26
	s_delay_alu instid0(SALU_CYCLE_1) | instskip(NEXT) | instid1(VALU_DEP_1)
	v_lshl_or_b32 v0, s8, 8, v0
	v_mul_u64_e32 v[2:3], s[22:23], v[0:1]
	v_mul_u64_e32 v[4:5], s[10:11], v[0:1]
	s_clause 0x1
	s_load_b64 s[10:11], s[0:1], 0x18
	s_load_b64 s[8:9], s[0:1], 0x50
	s_wait_xcnt 0x0
	s_add_nc_u64 s[0:1], s[6:7], s[24:25]
	v_cmp_gt_i64_e32 vcc_lo, s[18:19], v[0:1]
	s_wait_kmcnt 0x0
	s_add_nc_u64 s[6:7], s[10:11], s[20:21]
	s_delay_alu instid0(VALU_DEP_3) | instid1(SALU_CYCLE_1)
	v_lshl_add_u64 v[0:1], v[2:3], 1, s[6:7]
	s_delay_alu instid0(VALU_DEP_3)
	v_lshl_add_u64 v[2:3], v[4:5], 1, s[0:1]
	s_branch .LBB158_3
.LBB158_2:                              ;   in Loop: Header=BB158_3 Depth=1
	s_wait_xcnt 0x0
	s_or_b32 exec_lo, exec_lo, s1
	s_add_co_i32 s2, s2, 0x10000
	s_delay_alu instid0(SALU_CYCLE_1)
	s_cmp_lt_u32 s2, s16
	s_cbranch_scc0 .LBB158_5
.LBB158_3:                              ; =>This Inner Loop Header: Depth=1
	s_mul_u64 s[0:1], s[14:15], s[2:3]
	s_delay_alu instid0(SALU_CYCLE_1) | instskip(NEXT) | instid1(SALU_CYCLE_1)
	s_lshl_b64 s[0:1], s[0:1], 2
	s_add_nc_u64 s[0:1], s[12:13], s[0:1]
	s_load_b32 s0, s[0:1], 0x0
	s_wait_kmcnt 0x0
	s_cmp_neq_f32 s0, 0
	s_wait_xcnt 0x0
	s_cselect_b32 s1, -1, 0
	s_delay_alu instid0(SALU_CYCLE_1) | instskip(NEXT) | instid1(SALU_CYCLE_1)
	s_and_b32 s6, vcc_lo, s1
	s_and_saveexec_b32 s1, s6
	s_cbranch_execz .LBB158_2
; %bb.4:                                ;   in Loop: Header=BB158_3 Depth=1
	s_mul_u64 s[6:7], s[8:9], s[2:3]
	s_mul_u64 s[10:11], s[4:5], s[2:3]
	v_lshl_add_u64 v[4:5], s[6:7], 1, v[2:3]
	v_lshl_add_u64 v[6:7], s[10:11], 1, v[0:1]
	global_load_u16 v8, v[4:5], off
	global_load_u16 v9, v[6:7], off
	s_wait_loadcnt 0x0
	s_wait_xcnt 0x0
	v_fma_mixlo_f16 v6, s0, v9, v8 op_sel_hi:[0,1,1]
	global_store_b16 v[4:5], v6, off
	s_branch .LBB158_2
.LBB158_5:
	s_endpgm
	.section	.rodata,"a",@progbits
	.p2align	6, 0x0
	.amdhsa_kernel _ZL19rocblas_axpy_kernelIlLi256EfPKfPKDF16_PDF16_EviT2_lT3_lT_lT4_lS7_li
		.amdhsa_group_segment_fixed_size 0
		.amdhsa_private_segment_fixed_size 0
		.amdhsa_kernarg_size 92
		.amdhsa_user_sgpr_count 2
		.amdhsa_user_sgpr_dispatch_ptr 0
		.amdhsa_user_sgpr_queue_ptr 0
		.amdhsa_user_sgpr_kernarg_segment_ptr 1
		.amdhsa_user_sgpr_dispatch_id 0
		.amdhsa_user_sgpr_kernarg_preload_length 0
		.amdhsa_user_sgpr_kernarg_preload_offset 0
		.amdhsa_user_sgpr_private_segment_size 0
		.amdhsa_wavefront_size32 1
		.amdhsa_uses_dynamic_stack 0
		.amdhsa_enable_private_segment 0
		.amdhsa_system_sgpr_workgroup_id_x 1
		.amdhsa_system_sgpr_workgroup_id_y 0
		.amdhsa_system_sgpr_workgroup_id_z 1
		.amdhsa_system_sgpr_workgroup_info 0
		.amdhsa_system_vgpr_workitem_id 0
		.amdhsa_next_free_vgpr 10
		.amdhsa_next_free_sgpr 27
		.amdhsa_named_barrier_count 0
		.amdhsa_reserve_vcc 1
		.amdhsa_float_round_mode_32 0
		.amdhsa_float_round_mode_16_64 0
		.amdhsa_float_denorm_mode_32 3
		.amdhsa_float_denorm_mode_16_64 3
		.amdhsa_fp16_overflow 0
		.amdhsa_memory_ordered 1
		.amdhsa_forward_progress 1
		.amdhsa_inst_pref_size 4
		.amdhsa_round_robin_scheduling 0
		.amdhsa_exception_fp_ieee_invalid_op 0
		.amdhsa_exception_fp_denorm_src 0
		.amdhsa_exception_fp_ieee_div_zero 0
		.amdhsa_exception_fp_ieee_overflow 0
		.amdhsa_exception_fp_ieee_underflow 0
		.amdhsa_exception_fp_ieee_inexact 0
		.amdhsa_exception_int_div_zero 0
	.end_amdhsa_kernel
	.section	.text._ZL19rocblas_axpy_kernelIlLi256EfPKfPKDF16_PDF16_EviT2_lT3_lT_lT4_lS7_li,"axG",@progbits,_ZL19rocblas_axpy_kernelIlLi256EfPKfPKDF16_PDF16_EviT2_lT3_lT_lT4_lS7_li,comdat
.Lfunc_end158:
	.size	_ZL19rocblas_axpy_kernelIlLi256EfPKfPKDF16_PDF16_EviT2_lT3_lT_lT4_lS7_li, .Lfunc_end158-_ZL19rocblas_axpy_kernelIlLi256EfPKfPKDF16_PDF16_EviT2_lT3_lT_lT4_lS7_li
                                        ; -- End function
	.set _ZL19rocblas_axpy_kernelIlLi256EfPKfPKDF16_PDF16_EviT2_lT3_lT_lT4_lS7_li.num_vgpr, 10
	.set _ZL19rocblas_axpy_kernelIlLi256EfPKfPKDF16_PDF16_EviT2_lT3_lT_lT4_lS7_li.num_agpr, 0
	.set _ZL19rocblas_axpy_kernelIlLi256EfPKfPKDF16_PDF16_EviT2_lT3_lT_lT4_lS7_li.numbered_sgpr, 27
	.set _ZL19rocblas_axpy_kernelIlLi256EfPKfPKDF16_PDF16_EviT2_lT3_lT_lT4_lS7_li.num_named_barrier, 0
	.set _ZL19rocblas_axpy_kernelIlLi256EfPKfPKDF16_PDF16_EviT2_lT3_lT_lT4_lS7_li.private_seg_size, 0
	.set _ZL19rocblas_axpy_kernelIlLi256EfPKfPKDF16_PDF16_EviT2_lT3_lT_lT4_lS7_li.uses_vcc, 1
	.set _ZL19rocblas_axpy_kernelIlLi256EfPKfPKDF16_PDF16_EviT2_lT3_lT_lT4_lS7_li.uses_flat_scratch, 0
	.set _ZL19rocblas_axpy_kernelIlLi256EfPKfPKDF16_PDF16_EviT2_lT3_lT_lT4_lS7_li.has_dyn_sized_stack, 0
	.set _ZL19rocblas_axpy_kernelIlLi256EfPKfPKDF16_PDF16_EviT2_lT3_lT_lT4_lS7_li.has_recursion, 0
	.set _ZL19rocblas_axpy_kernelIlLi256EfPKfPKDF16_PDF16_EviT2_lT3_lT_lT4_lS7_li.has_indirect_call, 0
	.section	.AMDGPU.csdata,"",@progbits
; Kernel info:
; codeLenInByte = 412
; TotalNumSgprs: 29
; NumVgprs: 10
; ScratchSize: 0
; MemoryBound: 0
; FloatMode: 240
; IeeeMode: 1
; LDSByteSize: 0 bytes/workgroup (compile time only)
; SGPRBlocks: 0
; VGPRBlocks: 0
; NumSGPRsForWavesPerEU: 29
; NumVGPRsForWavesPerEU: 10
; NamedBarCnt: 0
; Occupancy: 16
; WaveLimiterHint : 0
; COMPUTE_PGM_RSRC2:SCRATCH_EN: 0
; COMPUTE_PGM_RSRC2:USER_SGPR: 2
; COMPUTE_PGM_RSRC2:TRAP_HANDLER: 0
; COMPUTE_PGM_RSRC2:TGID_X_EN: 1
; COMPUTE_PGM_RSRC2:TGID_Y_EN: 0
; COMPUTE_PGM_RSRC2:TGID_Z_EN: 1
; COMPUTE_PGM_RSRC2:TIDIG_COMP_CNT: 0
	.section	.text._ZL19rocblas_axpy_kernelIlLi256EffPKDF16_PDF16_EviT2_lT3_lT_lT4_lS5_li,"axG",@progbits,_ZL19rocblas_axpy_kernelIlLi256EffPKDF16_PDF16_EviT2_lT3_lT_lT4_lS5_li,comdat
	.globl	_ZL19rocblas_axpy_kernelIlLi256EffPKDF16_PDF16_EviT2_lT3_lT_lT4_lS5_li ; -- Begin function _ZL19rocblas_axpy_kernelIlLi256EffPKDF16_PDF16_EviT2_lT3_lT_lT4_lS5_li
	.p2align	8
	.type	_ZL19rocblas_axpy_kernelIlLi256EffPKDF16_PDF16_EviT2_lT3_lT_lT4_lS5_li,@function
_ZL19rocblas_axpy_kernelIlLi256EffPKDF16_PDF16_EviT2_lT3_lT_lT4_lS5_li: ; @_ZL19rocblas_axpy_kernelIlLi256EffPKDF16_PDF16_EviT2_lT3_lT_lT4_lS5_li
; %bb.0:
	s_load_b32 s12, s[0:1], 0x50
	s_bfe_u32 s2, ttmp6, 0x40014
	s_lshr_b32 s3, ttmp7, 16
	s_add_co_i32 s2, s2, 1
	s_bfe_u32 s4, ttmp6, 0x40008
	s_mul_i32 s2, s3, s2
	s_getreg_b32 s13, hwreg(HW_REG_IB_STS2, 6, 4)
	s_add_co_i32 s4, s4, s2
	s_cmp_eq_u32 s13, 0
	s_cselect_b32 s2, s3, s4
	s_mov_b32 s3, 0
	s_wait_kmcnt 0x0
	s_cmp_ge_u32 s2, s12
	s_cbranch_scc1 .LBB159_5
; %bb.1:
	s_clause 0x1
	s_load_b256 s[4:11], s[0:1], 0x28
	s_load_b128 s[16:19], s[0:1], 0x18
	s_bfe_u32 s14, ttmp6, 0x4000c
	s_and_b32 s15, ttmp6, 15
	s_add_co_i32 s14, s14, 1
	v_mov_b32_e32 v1, 0
	s_mul_i32 s14, ttmp9, s14
	s_delay_alu instid0(SALU_CYCLE_1)
	s_add_co_i32 s20, s15, s14
	s_wait_kmcnt 0x0
	s_lshl_b64 s[14:15], s[8:9], 1
	s_lshl_b64 s[16:17], s[16:17], 1
	s_cmp_eq_u32 s13, 0
	s_add_nc_u64 s[6:7], s[6:7], s[14:15]
	s_cselect_b32 s8, ttmp9, s20
	s_delay_alu instid0(SALU_CYCLE_1) | instskip(NEXT) | instid1(VALU_DEP_1)
	v_lshl_or_b32 v0, s8, 8, v0
	v_mul_u64_e32 v[2:3], s[18:19], v[0:1]
	v_mul_u64_e32 v[4:5], s[10:11], v[0:1]
	s_clause 0x2
	s_load_b64 s[8:9], s[0:1], 0x0
	s_load_b64 s[18:19], s[0:1], 0x10
	s_load_b64 s[10:11], s[0:1], 0x48
	s_wait_kmcnt 0x0
	s_cmp_neq_f32 s9, 0
	s_mov_b32 s0, s8
	s_cselect_b32 s13, -1, 0
	s_ashr_i32 s1, s8, 31
	s_delay_alu instid0(SALU_CYCLE_1)
	v_cmp_gt_i64_e32 vcc_lo, s[0:1], v[0:1]
	s_add_nc_u64 s[0:1], s[18:19], s[16:17]
	s_delay_alu instid0(VALU_DEP_3) | instid1(SALU_CYCLE_1)
	v_lshl_add_u64 v[0:1], v[2:3], 1, s[0:1]
	s_delay_alu instid0(VALU_DEP_3)
	v_lshl_add_u64 v[2:3], v[4:5], 1, s[6:7]
	s_and_b32 s0, s13, vcc_lo
	s_branch .LBB159_3
.LBB159_2:                              ;   in Loop: Header=BB159_3 Depth=1
	s_wait_xcnt 0x0
	s_or_b32 exec_lo, exec_lo, s1
	s_add_co_i32 s2, s2, 0x10000
	s_delay_alu instid0(SALU_CYCLE_1)
	s_cmp_lt_u32 s2, s12
	s_cbranch_scc0 .LBB159_5
.LBB159_3:                              ; =>This Inner Loop Header: Depth=1
	s_and_saveexec_b32 s1, s0
	s_cbranch_execz .LBB159_2
; %bb.4:                                ;   in Loop: Header=BB159_3 Depth=1
	s_mul_u64 s[6:7], s[10:11], s[2:3]
	s_mul_u64 s[14:15], s[4:5], s[2:3]
	v_lshl_add_u64 v[4:5], s[6:7], 1, v[2:3]
	v_lshl_add_u64 v[6:7], s[14:15], 1, v[0:1]
	global_load_u16 v8, v[4:5], off
	global_load_u16 v9, v[6:7], off
	s_wait_loadcnt 0x0
	s_wait_xcnt 0x0
	v_fma_mixlo_f16 v6, s9, v9, v8 op_sel_hi:[0,1,1]
	global_store_b16 v[4:5], v6, off
	s_branch .LBB159_2
.LBB159_5:
	s_endpgm
	.section	.rodata,"a",@progbits
	.p2align	6, 0x0
	.amdhsa_kernel _ZL19rocblas_axpy_kernelIlLi256EffPKDF16_PDF16_EviT2_lT3_lT_lT4_lS5_li
		.amdhsa_group_segment_fixed_size 0
		.amdhsa_private_segment_fixed_size 0
		.amdhsa_kernarg_size 84
		.amdhsa_user_sgpr_count 2
		.amdhsa_user_sgpr_dispatch_ptr 0
		.amdhsa_user_sgpr_queue_ptr 0
		.amdhsa_user_sgpr_kernarg_segment_ptr 1
		.amdhsa_user_sgpr_dispatch_id 0
		.amdhsa_user_sgpr_kernarg_preload_length 0
		.amdhsa_user_sgpr_kernarg_preload_offset 0
		.amdhsa_user_sgpr_private_segment_size 0
		.amdhsa_wavefront_size32 1
		.amdhsa_uses_dynamic_stack 0
		.amdhsa_enable_private_segment 0
		.amdhsa_system_sgpr_workgroup_id_x 1
		.amdhsa_system_sgpr_workgroup_id_y 0
		.amdhsa_system_sgpr_workgroup_id_z 1
		.amdhsa_system_sgpr_workgroup_info 0
		.amdhsa_system_vgpr_workitem_id 0
		.amdhsa_next_free_vgpr 10
		.amdhsa_next_free_sgpr 21
		.amdhsa_named_barrier_count 0
		.amdhsa_reserve_vcc 1
		.amdhsa_float_round_mode_32 0
		.amdhsa_float_round_mode_16_64 0
		.amdhsa_float_denorm_mode_32 3
		.amdhsa_float_denorm_mode_16_64 3
		.amdhsa_fp16_overflow 0
		.amdhsa_memory_ordered 1
		.amdhsa_forward_progress 1
		.amdhsa_inst_pref_size 3
		.amdhsa_round_robin_scheduling 0
		.amdhsa_exception_fp_ieee_invalid_op 0
		.amdhsa_exception_fp_denorm_src 0
		.amdhsa_exception_fp_ieee_div_zero 0
		.amdhsa_exception_fp_ieee_overflow 0
		.amdhsa_exception_fp_ieee_underflow 0
		.amdhsa_exception_fp_ieee_inexact 0
		.amdhsa_exception_int_div_zero 0
	.end_amdhsa_kernel
	.section	.text._ZL19rocblas_axpy_kernelIlLi256EffPKDF16_PDF16_EviT2_lT3_lT_lT4_lS5_li,"axG",@progbits,_ZL19rocblas_axpy_kernelIlLi256EffPKDF16_PDF16_EviT2_lT3_lT_lT4_lS5_li,comdat
.Lfunc_end159:
	.size	_ZL19rocblas_axpy_kernelIlLi256EffPKDF16_PDF16_EviT2_lT3_lT_lT4_lS5_li, .Lfunc_end159-_ZL19rocblas_axpy_kernelIlLi256EffPKDF16_PDF16_EviT2_lT3_lT_lT4_lS5_li
                                        ; -- End function
	.set _ZL19rocblas_axpy_kernelIlLi256EffPKDF16_PDF16_EviT2_lT3_lT_lT4_lS5_li.num_vgpr, 10
	.set _ZL19rocblas_axpy_kernelIlLi256EffPKDF16_PDF16_EviT2_lT3_lT_lT4_lS5_li.num_agpr, 0
	.set _ZL19rocblas_axpy_kernelIlLi256EffPKDF16_PDF16_EviT2_lT3_lT_lT4_lS5_li.numbered_sgpr, 21
	.set _ZL19rocblas_axpy_kernelIlLi256EffPKDF16_PDF16_EviT2_lT3_lT_lT4_lS5_li.num_named_barrier, 0
	.set _ZL19rocblas_axpy_kernelIlLi256EffPKDF16_PDF16_EviT2_lT3_lT_lT4_lS5_li.private_seg_size, 0
	.set _ZL19rocblas_axpy_kernelIlLi256EffPKDF16_PDF16_EviT2_lT3_lT_lT4_lS5_li.uses_vcc, 1
	.set _ZL19rocblas_axpy_kernelIlLi256EffPKDF16_PDF16_EviT2_lT3_lT_lT4_lS5_li.uses_flat_scratch, 0
	.set _ZL19rocblas_axpy_kernelIlLi256EffPKDF16_PDF16_EviT2_lT3_lT_lT4_lS5_li.has_dyn_sized_stack, 0
	.set _ZL19rocblas_axpy_kernelIlLi256EffPKDF16_PDF16_EviT2_lT3_lT_lT4_lS5_li.has_recursion, 0
	.set _ZL19rocblas_axpy_kernelIlLi256EffPKDF16_PDF16_EviT2_lT3_lT_lT4_lS5_li.has_indirect_call, 0
	.section	.AMDGPU.csdata,"",@progbits
; Kernel info:
; codeLenInByte = 376
; TotalNumSgprs: 23
; NumVgprs: 10
; ScratchSize: 0
; MemoryBound: 0
; FloatMode: 240
; IeeeMode: 1
; LDSByteSize: 0 bytes/workgroup (compile time only)
; SGPRBlocks: 0
; VGPRBlocks: 0
; NumSGPRsForWavesPerEU: 23
; NumVGPRsForWavesPerEU: 10
; NamedBarCnt: 0
; Occupancy: 16
; WaveLimiterHint : 0
; COMPUTE_PGM_RSRC2:SCRATCH_EN: 0
; COMPUTE_PGM_RSRC2:USER_SGPR: 2
; COMPUTE_PGM_RSRC2:TRAP_HANDLER: 0
; COMPUTE_PGM_RSRC2:TGID_X_EN: 1
; COMPUTE_PGM_RSRC2:TGID_Y_EN: 0
; COMPUTE_PGM_RSRC2:TGID_Z_EN: 1
; COMPUTE_PGM_RSRC2:TIDIG_COMP_CNT: 0
	.section	.text._ZL26rocblas_haxpy_mlt_8_kernelILi256EPKDF16_PKPK16rocblas_bfloat16PKPS2_EviT0_lT1_llT2_lli,"axG",@progbits,_ZL26rocblas_haxpy_mlt_8_kernelILi256EPKDF16_PKPK16rocblas_bfloat16PKPS2_EviT0_lT1_llT2_lli,comdat
	.globl	_ZL26rocblas_haxpy_mlt_8_kernelILi256EPKDF16_PKPK16rocblas_bfloat16PKPS2_EviT0_lT1_llT2_lli ; -- Begin function _ZL26rocblas_haxpy_mlt_8_kernelILi256EPKDF16_PKPK16rocblas_bfloat16PKPS2_EviT0_lT1_llT2_lli
	.p2align	8
	.type	_ZL26rocblas_haxpy_mlt_8_kernelILi256EPKDF16_PKPK16rocblas_bfloat16PKPS2_EviT0_lT1_llT2_lli,@function
_ZL26rocblas_haxpy_mlt_8_kernelILi256EPKDF16_PKPK16rocblas_bfloat16PKPS2_EviT0_lT1_llT2_lli: ; @_ZL26rocblas_haxpy_mlt_8_kernelILi256EPKDF16_PKPK16rocblas_bfloat16PKPS2_EviT0_lT1_llT2_lli
; %bb.0:
	s_load_b32 s14, s[0:1], 0x48
	s_bfe_u32 s2, ttmp6, 0x40014
	s_lshr_b32 s3, ttmp7, 16
	s_add_co_i32 s2, s2, 1
	s_bfe_u32 s5, ttmp6, 0x40008
	s_mul_i32 s4, s3, s2
	s_getreg_b32 s2, hwreg(HW_REG_IB_STS2, 6, 4)
	s_add_co_i32 s5, s5, s4
	s_cmp_eq_u32 s2, 0
	s_mov_b32 s13, 0
	s_cselect_b32 s12, s3, s5
	s_wait_kmcnt 0x0
	s_cmp_ge_u32 s12, s14
	s_cbranch_scc1 .LBB160_5
; %bb.1:
	s_load_b32 s16, s[0:1], 0x0
	s_bfe_u32 s3, ttmp6, 0x4000c
	s_and_b32 s15, ttmp6, 15
	s_add_co_i32 s3, s3, 1
	s_load_b256 s[4:11], s[0:1], 0x8
	s_mul_i32 s3, ttmp9, s3
	v_mov_b32_e32 v1, 0
	s_add_co_i32 s15, s15, s3
	s_wait_kmcnt 0x0
	s_ashr_i32 s17, s16, 31
	s_cmp_eq_u32 s2, 0
	s_load_b128 s[0:3], s[0:1], 0x30
	s_cselect_b32 s15, ttmp9, s15
	s_lshl_b64 s[10:11], s[10:11], 1
	v_lshl_or_b32 v0, s15, 8, v0
	s_delay_alu instid0(VALU_DEP_1) | instskip(NEXT) | instid1(VALU_DEP_1)
	v_lshlrev_b64_e32 v[2:3], 3, v[0:1]
	v_cmp_le_i64_e32 vcc_lo, s[16:17], v[2:3]
	v_lshlrev_b64_e32 v[2:3], 1, v[2:3]
	s_wait_kmcnt 0x0
	s_lshl_b64 s[2:3], s[2:3], 1
	s_xor_b32 s15, vcc_lo, -1
	s_branch .LBB160_3
.LBB160_2:                              ;   in Loop: Header=BB160_3 Depth=1
	s_wait_xcnt 0x0
	s_or_b32 exec_lo, exec_lo, s16
	s_add_co_i32 s12, s12, 0x10000
	s_delay_alu instid0(SALU_CYCLE_1)
	s_cmp_lt_u32 s12, s14
	s_cbranch_scc0 .LBB160_5
.LBB160_3:                              ; =>This Inner Loop Header: Depth=1
	s_mul_u64 s[16:17], s[6:7], s[12:13]
	s_delay_alu instid0(SALU_CYCLE_1) | instskip(NEXT) | instid1(SALU_CYCLE_1)
	s_lshl_b64 s[16:17], s[16:17], 1
	s_add_nc_u64 s[16:17], s[4:5], s[16:17]
	global_load_u16 v0, v1, s[16:17]
	s_wait_loadcnt 0x0
	s_wait_xcnt 0x0
	v_readfirstlane_b32 s16, v0
	s_pack_ll_b32_b16 s16, s16, s16
	s_delay_alu instid0(SALU_CYCLE_1) | instskip(NEXT) | instid1(SALU_CYCLE_1)
	s_and_b32 s16, s16, 0x7fff
	s_cmp_lg_u32 s16, 0
	s_cselect_b32 s16, -1, 0
	s_delay_alu instid0(SALU_CYCLE_1) | instskip(NEXT) | instid1(SALU_CYCLE_1)
	s_and_b32 s17, s16, s15
	s_and_saveexec_b32 s16, s17
	s_cbranch_execz .LBB160_2
; %bb.4:                                ;   in Loop: Header=BB160_3 Depth=1
	s_lshl_b64 s[18:19], s[12:13], 3
	s_delay_alu instid0(SALU_CYCLE_1)
	s_add_nc_u64 s[20:21], s[0:1], s[18:19]
	s_add_nc_u64 s[18:19], s[8:9], s[18:19]
	s_clause 0x1
	global_load_b64 v[4:5], v1, s[20:21]
	global_load_b64 v[6:7], v1, s[18:19]
	s_wait_loadcnt 0x1
	v_add_nc_u64_e32 v[4:5], s[2:3], v[4:5]
	s_wait_loadcnt 0x0
	v_add_nc_u64_e32 v[6:7], s[10:11], v[6:7]
	s_delay_alu instid0(VALU_DEP_2) | instskip(NEXT) | instid1(VALU_DEP_2)
	v_add_nc_u64_e32 v[12:13], v[4:5], v[2:3]
	v_add_nc_u64_e32 v[14:15], v[6:7], v[2:3]
	flat_load_b128 v[4:7], v[12:13]
	flat_load_b128 v[8:11], v[14:15]
	s_wait_loadcnt_dscnt 0x0
	v_pk_fma_f16 v7, v0, v11, v7 op_sel_hi:[0,1,1]
	v_pk_fma_f16 v6, v0, v10, v6 op_sel_hi:[0,1,1]
	;; [unrolled: 1-line block ×4, first 2 shown]
	flat_store_b128 v[12:13], v[4:7]
	s_branch .LBB160_2
.LBB160_5:
	s_endpgm
	.section	.rodata,"a",@progbits
	.p2align	6, 0x0
	.amdhsa_kernel _ZL26rocblas_haxpy_mlt_8_kernelILi256EPKDF16_PKPK16rocblas_bfloat16PKPS2_EviT0_lT1_llT2_lli
		.amdhsa_group_segment_fixed_size 0
		.amdhsa_private_segment_fixed_size 0
		.amdhsa_kernarg_size 76
		.amdhsa_user_sgpr_count 2
		.amdhsa_user_sgpr_dispatch_ptr 0
		.amdhsa_user_sgpr_queue_ptr 0
		.amdhsa_user_sgpr_kernarg_segment_ptr 1
		.amdhsa_user_sgpr_dispatch_id 0
		.amdhsa_user_sgpr_kernarg_preload_length 0
		.amdhsa_user_sgpr_kernarg_preload_offset 0
		.amdhsa_user_sgpr_private_segment_size 0
		.amdhsa_wavefront_size32 1
		.amdhsa_uses_dynamic_stack 0
		.amdhsa_enable_private_segment 0
		.amdhsa_system_sgpr_workgroup_id_x 1
		.amdhsa_system_sgpr_workgroup_id_y 0
		.amdhsa_system_sgpr_workgroup_id_z 1
		.amdhsa_system_sgpr_workgroup_info 0
		.amdhsa_system_vgpr_workitem_id 0
		.amdhsa_next_free_vgpr 16
		.amdhsa_next_free_sgpr 22
		.amdhsa_named_barrier_count 0
		.amdhsa_reserve_vcc 1
		.amdhsa_float_round_mode_32 0
		.amdhsa_float_round_mode_16_64 0
		.amdhsa_float_denorm_mode_32 3
		.amdhsa_float_denorm_mode_16_64 3
		.amdhsa_fp16_overflow 0
		.amdhsa_memory_ordered 1
		.amdhsa_forward_progress 1
		.amdhsa_inst_pref_size 4
		.amdhsa_round_robin_scheduling 0
		.amdhsa_exception_fp_ieee_invalid_op 0
		.amdhsa_exception_fp_denorm_src 0
		.amdhsa_exception_fp_ieee_div_zero 0
		.amdhsa_exception_fp_ieee_overflow 0
		.amdhsa_exception_fp_ieee_underflow 0
		.amdhsa_exception_fp_ieee_inexact 0
		.amdhsa_exception_int_div_zero 0
	.end_amdhsa_kernel
	.section	.text._ZL26rocblas_haxpy_mlt_8_kernelILi256EPKDF16_PKPK16rocblas_bfloat16PKPS2_EviT0_lT1_llT2_lli,"axG",@progbits,_ZL26rocblas_haxpy_mlt_8_kernelILi256EPKDF16_PKPK16rocblas_bfloat16PKPS2_EviT0_lT1_llT2_lli,comdat
.Lfunc_end160:
	.size	_ZL26rocblas_haxpy_mlt_8_kernelILi256EPKDF16_PKPK16rocblas_bfloat16PKPS2_EviT0_lT1_llT2_lli, .Lfunc_end160-_ZL26rocblas_haxpy_mlt_8_kernelILi256EPKDF16_PKPK16rocblas_bfloat16PKPS2_EviT0_lT1_llT2_lli
                                        ; -- End function
	.set _ZL26rocblas_haxpy_mlt_8_kernelILi256EPKDF16_PKPK16rocblas_bfloat16PKPS2_EviT0_lT1_llT2_lli.num_vgpr, 16
	.set _ZL26rocblas_haxpy_mlt_8_kernelILi256EPKDF16_PKPK16rocblas_bfloat16PKPS2_EviT0_lT1_llT2_lli.num_agpr, 0
	.set _ZL26rocblas_haxpy_mlt_8_kernelILi256EPKDF16_PKPK16rocblas_bfloat16PKPS2_EviT0_lT1_llT2_lli.numbered_sgpr, 22
	.set _ZL26rocblas_haxpy_mlt_8_kernelILi256EPKDF16_PKPK16rocblas_bfloat16PKPS2_EviT0_lT1_llT2_lli.num_named_barrier, 0
	.set _ZL26rocblas_haxpy_mlt_8_kernelILi256EPKDF16_PKPK16rocblas_bfloat16PKPS2_EviT0_lT1_llT2_lli.private_seg_size, 0
	.set _ZL26rocblas_haxpy_mlt_8_kernelILi256EPKDF16_PKPK16rocblas_bfloat16PKPS2_EviT0_lT1_llT2_lli.uses_vcc, 1
	.set _ZL26rocblas_haxpy_mlt_8_kernelILi256EPKDF16_PKPK16rocblas_bfloat16PKPS2_EviT0_lT1_llT2_lli.uses_flat_scratch, 0
	.set _ZL26rocblas_haxpy_mlt_8_kernelILi256EPKDF16_PKPK16rocblas_bfloat16PKPS2_EviT0_lT1_llT2_lli.has_dyn_sized_stack, 0
	.set _ZL26rocblas_haxpy_mlt_8_kernelILi256EPKDF16_PKPK16rocblas_bfloat16PKPS2_EviT0_lT1_llT2_lli.has_recursion, 0
	.set _ZL26rocblas_haxpy_mlt_8_kernelILi256EPKDF16_PKPK16rocblas_bfloat16PKPS2_EviT0_lT1_llT2_lli.has_indirect_call, 0
	.section	.AMDGPU.csdata,"",@progbits
; Kernel info:
; codeLenInByte = 440
; TotalNumSgprs: 24
; NumVgprs: 16
; ScratchSize: 0
; MemoryBound: 1
; FloatMode: 240
; IeeeMode: 1
; LDSByteSize: 0 bytes/workgroup (compile time only)
; SGPRBlocks: 0
; VGPRBlocks: 0
; NumSGPRsForWavesPerEU: 24
; NumVGPRsForWavesPerEU: 16
; NamedBarCnt: 0
; Occupancy: 16
; WaveLimiterHint : 1
; COMPUTE_PGM_RSRC2:SCRATCH_EN: 0
; COMPUTE_PGM_RSRC2:USER_SGPR: 2
; COMPUTE_PGM_RSRC2:TRAP_HANDLER: 0
; COMPUTE_PGM_RSRC2:TGID_X_EN: 1
; COMPUTE_PGM_RSRC2:TGID_Y_EN: 0
; COMPUTE_PGM_RSRC2:TGID_Z_EN: 1
; COMPUTE_PGM_RSRC2:TIDIG_COMP_CNT: 0
	.section	.text._ZL26rocblas_haxpy_mod_8_kernelILi256EPK16rocblas_bfloat16PKS2_PKPS0_EviT0_lT1_llT2_lli,"axG",@progbits,_ZL26rocblas_haxpy_mod_8_kernelILi256EPK16rocblas_bfloat16PKS2_PKPS0_EviT0_lT1_llT2_lli,comdat
	.globl	_ZL26rocblas_haxpy_mod_8_kernelILi256EPK16rocblas_bfloat16PKS2_PKPS0_EviT0_lT1_llT2_lli ; -- Begin function _ZL26rocblas_haxpy_mod_8_kernelILi256EPK16rocblas_bfloat16PKS2_PKPS0_EviT0_lT1_llT2_lli
	.p2align	8
	.type	_ZL26rocblas_haxpy_mod_8_kernelILi256EPK16rocblas_bfloat16PKS2_PKPS0_EviT0_lT1_llT2_lli,@function
_ZL26rocblas_haxpy_mod_8_kernelILi256EPK16rocblas_bfloat16PKS2_PKPS0_EviT0_lT1_llT2_lli: ; @_ZL26rocblas_haxpy_mod_8_kernelILi256EPK16rocblas_bfloat16PKS2_PKPS0_EviT0_lT1_llT2_lli
; %bb.0:
	s_load_b32 s18, s[0:1], 0x48
	s_bfe_u32 s2, ttmp6, 0x40014
	s_lshr_b32 s3, ttmp7, 16
	s_add_co_i32 s2, s2, 1
	s_bfe_u32 s4, ttmp6, 0x40008
	s_mul_i32 s2, s3, s2
	s_getreg_b32 s16, hwreg(HW_REG_IB_STS2, 6, 4)
	s_add_co_i32 s4, s4, s2
	s_cmp_eq_u32 s16, 0
	s_cselect_b32 s2, s3, s4
	s_mov_b32 s3, 0
	s_wait_kmcnt 0x0
	s_cmp_ge_u32 s2, s18
	s_cbranch_scc1 .LBB161_13
; %bb.1:
	s_clause 0x2
	s_load_b32 s20, s[0:1], 0x0
	s_load_b256 s[4:11], s[0:1], 0x8
	s_load_b128 s[12:15], s[0:1], 0x30
	s_bfe_u32 s17, ttmp6, 0x4000c
	s_wait_xcnt 0x0
	s_and_b32 s0, ttmp6, 15
	s_add_co_i32 s17, s17, 1
	v_mov_b32_e32 v1, 0
	s_mul_i32 s1, ttmp9, s17
	s_delay_alu instid0(SALU_CYCLE_1)
	s_add_co_i32 s0, s0, s1
	s_wait_kmcnt 0x0
	s_ashr_i32 s21, s20, 31
	s_cmp_eq_u32 s16, 0
	s_cselect_b32 s0, ttmp9, s0
	s_lshl_b64 s[10:11], s[10:11], 1
	v_lshl_or_b32 v0, s0, 8, v0
	s_lshl_b64 s[14:15], s[14:15], 1
	s_delay_alu instid0(VALU_DEP_1)
	v_cmp_gt_i64_e32 vcc_lo, s[20:21], v[0:1]
	s_branch .LBB161_4
.LBB161_2:                              ;   in Loop: Header=BB161_4 Depth=1
	s_or_b32 exec_lo, exec_lo, s16
	flat_store_d16_hi_b16 v[2:3], v5
.LBB161_3:                              ;   in Loop: Header=BB161_4 Depth=1
	s_wait_xcnt 0x0
	s_or_b32 exec_lo, exec_lo, s1
	s_add_co_i32 s2, s2, 0x10000
	s_delay_alu instid0(SALU_CYCLE_1)
	s_cmp_lt_u32 s2, s18
	s_cbranch_scc0 .LBB161_13
.LBB161_4:                              ; =>This Inner Loop Header: Depth=1
	s_mul_u64 s[0:1], s[6:7], s[2:3]
	s_delay_alu instid0(SALU_CYCLE_1) | instskip(NEXT) | instid1(SALU_CYCLE_1)
	s_lshl_b64 s[0:1], s[0:1], 1
	s_add_nc_u64 s[0:1], s[4:5], s[0:1]
	global_load_u16 v2, v1, s[0:1]
	s_wait_loadcnt 0x0
	s_wait_xcnt 0x0
	v_readfirstlane_b32 s0, v2
	s_and_b32 s0, s0, 0x7fff
	s_delay_alu instid0(SALU_CYCLE_1) | instskip(SKIP_1) | instid1(SALU_CYCLE_1)
	s_cmp_lg_u32 s0, 0
	s_cselect_b32 s0, -1, 0
	s_and_b32 s0, vcc_lo, s0
	s_delay_alu instid0(SALU_CYCLE_1)
	s_and_saveexec_b32 s1, s0
	s_cbranch_execz .LBB161_3
; %bb.5:                                ;   in Loop: Header=BB161_4 Depth=1
	s_lshl_b64 s[16:17], s[2:3], 3
	v_lshlrev_b32_e32 v2, 16, v2
	s_add_nc_u64 s[20:21], s[8:9], s[16:17]
	s_load_b64 s[20:21], s[20:21], 0x0
	s_wait_kmcnt 0x0
	s_wait_xcnt 0x0
	s_add_nc_u64 s[20:21], s[20:21], s[10:11]
	s_delay_alu instid0(SALU_CYCLE_1) | instskip(SKIP_3) | instid1(VALU_DEP_1)
	v_lshl_add_u64 v[4:5], v[0:1], 1, s[20:21]
	flat_load_u16 v3, v[4:5]
                                        ; implicit-def: $vgpr4
	s_wait_loadcnt_dscnt 0x0
	v_lshlrev_b32_e32 v3, 16, v3
	v_mul_f32_e32 v2, v3, v2
	s_delay_alu instid0(VALU_DEP_1) | instskip(NEXT) | instid1(VALU_DEP_1)
	v_and_b32_e32 v3, 0x7f800000, v2
	v_cmp_ne_u32_e64 s0, 0x7f800000, v3
	s_wait_xcnt 0x0
	s_and_saveexec_b32 s19, s0
	s_delay_alu instid0(SALU_CYCLE_1)
	s_xor_b32 s0, exec_lo, s19
; %bb.6:                                ;   in Loop: Header=BB161_4 Depth=1
	v_bfe_u32 v3, v2, 16, 1
	s_delay_alu instid0(VALU_DEP_1)
	v_add3_u32 v4, v2, v3, 0x7fff
                                        ; implicit-def: $vgpr2
; %bb.7:                                ;   in Loop: Header=BB161_4 Depth=1
	s_or_saveexec_b32 s19, s0
	s_add_nc_u64 s[16:17], s[12:13], s[16:17]
	s_load_b64 s[16:17], s[16:17], 0x0
	s_xor_b32 exec_lo, exec_lo, s19
; %bb.8:                                ;   in Loop: Header=BB161_4 Depth=1
	v_and_b32_e32 v3, 0xffff, v2
	v_or_b32_e32 v4, 0x10000, v2
	s_delay_alu instid0(VALU_DEP_2) | instskip(NEXT) | instid1(VALU_DEP_1)
	v_cmp_eq_u32_e64 s0, 0, v3
	v_cndmask_b32_e64 v4, v4, v2, s0
; %bb.9:                                ;   in Loop: Header=BB161_4 Depth=1
	s_or_b32 exec_lo, exec_lo, s19
	s_wait_kmcnt 0x0
	s_wait_xcnt 0x0
	s_add_nc_u64 s[16:17], s[16:17], s[14:15]
	v_and_b32_e32 v4, 0xffff0000, v4
	v_lshl_add_u64 v[2:3], v[0:1], 1, s[16:17]
	flat_load_u16 v5, v[2:3]
	s_wait_loadcnt_dscnt 0x0
	v_lshlrev_b32_e32 v5, 16, v5
	s_delay_alu instid0(VALU_DEP_1) | instskip(NEXT) | instid1(VALU_DEP_1)
	v_add_f32_e32 v4, v4, v5
	v_and_b32_e32 v5, 0x7f800000, v4
	s_delay_alu instid0(VALU_DEP_1) | instskip(SKIP_2) | instid1(SALU_CYCLE_1)
	v_cmp_ne_u32_e64 s0, 0x7f800000, v5
                                        ; implicit-def: $vgpr5
	s_wait_xcnt 0x0
	s_and_saveexec_b32 s16, s0
	s_xor_b32 s0, exec_lo, s16
; %bb.10:                               ;   in Loop: Header=BB161_4 Depth=1
	v_bfe_u32 v5, v4, 16, 1
	s_delay_alu instid0(VALU_DEP_1)
	v_add3_u32 v5, v4, v5, 0x7fff
                                        ; implicit-def: $vgpr4
; %bb.11:                               ;   in Loop: Header=BB161_4 Depth=1
	s_and_not1_saveexec_b32 s16, s0
	s_cbranch_execz .LBB161_2
; %bb.12:                               ;   in Loop: Header=BB161_4 Depth=1
	v_and_b32_e32 v5, 0xffff, v4
	v_or_b32_e32 v6, 0x10000, v4
	s_delay_alu instid0(VALU_DEP_2) | instskip(NEXT) | instid1(VALU_DEP_1)
	v_cmp_eq_u32_e64 s0, 0, v5
	v_cndmask_b32_e64 v5, v6, v4, s0
	s_branch .LBB161_2
.LBB161_13:
	s_endpgm
	.section	.rodata,"a",@progbits
	.p2align	6, 0x0
	.amdhsa_kernel _ZL26rocblas_haxpy_mod_8_kernelILi256EPK16rocblas_bfloat16PKS2_PKPS0_EviT0_lT1_llT2_lli
		.amdhsa_group_segment_fixed_size 0
		.amdhsa_private_segment_fixed_size 0
		.amdhsa_kernarg_size 76
		.amdhsa_user_sgpr_count 2
		.amdhsa_user_sgpr_dispatch_ptr 0
		.amdhsa_user_sgpr_queue_ptr 0
		.amdhsa_user_sgpr_kernarg_segment_ptr 1
		.amdhsa_user_sgpr_dispatch_id 0
		.amdhsa_user_sgpr_kernarg_preload_length 0
		.amdhsa_user_sgpr_kernarg_preload_offset 0
		.amdhsa_user_sgpr_private_segment_size 0
		.amdhsa_wavefront_size32 1
		.amdhsa_uses_dynamic_stack 0
		.amdhsa_enable_private_segment 0
		.amdhsa_system_sgpr_workgroup_id_x 1
		.amdhsa_system_sgpr_workgroup_id_y 0
		.amdhsa_system_sgpr_workgroup_id_z 1
		.amdhsa_system_sgpr_workgroup_info 0
		.amdhsa_system_vgpr_workitem_id 0
		.amdhsa_next_free_vgpr 7
		.amdhsa_next_free_sgpr 22
		.amdhsa_named_barrier_count 0
		.amdhsa_reserve_vcc 1
		.amdhsa_float_round_mode_32 0
		.amdhsa_float_round_mode_16_64 0
		.amdhsa_float_denorm_mode_32 3
		.amdhsa_float_denorm_mode_16_64 3
		.amdhsa_fp16_overflow 0
		.amdhsa_memory_ordered 1
		.amdhsa_forward_progress 1
		.amdhsa_inst_pref_size 6
		.amdhsa_round_robin_scheduling 0
		.amdhsa_exception_fp_ieee_invalid_op 0
		.amdhsa_exception_fp_denorm_src 0
		.amdhsa_exception_fp_ieee_div_zero 0
		.amdhsa_exception_fp_ieee_overflow 0
		.amdhsa_exception_fp_ieee_underflow 0
		.amdhsa_exception_fp_ieee_inexact 0
		.amdhsa_exception_int_div_zero 0
	.end_amdhsa_kernel
	.section	.text._ZL26rocblas_haxpy_mod_8_kernelILi256EPK16rocblas_bfloat16PKS2_PKPS0_EviT0_lT1_llT2_lli,"axG",@progbits,_ZL26rocblas_haxpy_mod_8_kernelILi256EPK16rocblas_bfloat16PKS2_PKPS0_EviT0_lT1_llT2_lli,comdat
.Lfunc_end161:
	.size	_ZL26rocblas_haxpy_mod_8_kernelILi256EPK16rocblas_bfloat16PKS2_PKPS0_EviT0_lT1_llT2_lli, .Lfunc_end161-_ZL26rocblas_haxpy_mod_8_kernelILi256EPK16rocblas_bfloat16PKS2_PKPS0_EviT0_lT1_llT2_lli
                                        ; -- End function
	.set _ZL26rocblas_haxpy_mod_8_kernelILi256EPK16rocblas_bfloat16PKS2_PKPS0_EviT0_lT1_llT2_lli.num_vgpr, 7
	.set _ZL26rocblas_haxpy_mod_8_kernelILi256EPK16rocblas_bfloat16PKS2_PKPS0_EviT0_lT1_llT2_lli.num_agpr, 0
	.set _ZL26rocblas_haxpy_mod_8_kernelILi256EPK16rocblas_bfloat16PKS2_PKPS0_EviT0_lT1_llT2_lli.numbered_sgpr, 22
	.set _ZL26rocblas_haxpy_mod_8_kernelILi256EPK16rocblas_bfloat16PKS2_PKPS0_EviT0_lT1_llT2_lli.num_named_barrier, 0
	.set _ZL26rocblas_haxpy_mod_8_kernelILi256EPK16rocblas_bfloat16PKS2_PKPS0_EviT0_lT1_llT2_lli.private_seg_size, 0
	.set _ZL26rocblas_haxpy_mod_8_kernelILi256EPK16rocblas_bfloat16PKS2_PKPS0_EviT0_lT1_llT2_lli.uses_vcc, 1
	.set _ZL26rocblas_haxpy_mod_8_kernelILi256EPK16rocblas_bfloat16PKS2_PKPS0_EviT0_lT1_llT2_lli.uses_flat_scratch, 0
	.set _ZL26rocblas_haxpy_mod_8_kernelILi256EPK16rocblas_bfloat16PKS2_PKPS0_EviT0_lT1_llT2_lli.has_dyn_sized_stack, 0
	.set _ZL26rocblas_haxpy_mod_8_kernelILi256EPK16rocblas_bfloat16PKS2_PKPS0_EviT0_lT1_llT2_lli.has_recursion, 0
	.set _ZL26rocblas_haxpy_mod_8_kernelILi256EPK16rocblas_bfloat16PKS2_PKPS0_EviT0_lT1_llT2_lli.has_indirect_call, 0
	.section	.AMDGPU.csdata,"",@progbits
; Kernel info:
; codeLenInByte = 656
; TotalNumSgprs: 24
; NumVgprs: 7
; ScratchSize: 0
; MemoryBound: 0
; FloatMode: 240
; IeeeMode: 1
; LDSByteSize: 0 bytes/workgroup (compile time only)
; SGPRBlocks: 0
; VGPRBlocks: 0
; NumSGPRsForWavesPerEU: 24
; NumVGPRsForWavesPerEU: 7
; NamedBarCnt: 0
; Occupancy: 16
; WaveLimiterHint : 1
; COMPUTE_PGM_RSRC2:SCRATCH_EN: 0
; COMPUTE_PGM_RSRC2:USER_SGPR: 2
; COMPUTE_PGM_RSRC2:TRAP_HANDLER: 0
; COMPUTE_PGM_RSRC2:TGID_X_EN: 1
; COMPUTE_PGM_RSRC2:TGID_Y_EN: 0
; COMPUTE_PGM_RSRC2:TGID_Z_EN: 1
; COMPUTE_PGM_RSRC2:TIDIG_COMP_CNT: 0
	.section	.text._ZL26rocblas_haxpy_mlt_8_kernelILi256EDF16_PKPK16rocblas_bfloat16PKPS0_EviT0_lT1_llT2_lli,"axG",@progbits,_ZL26rocblas_haxpy_mlt_8_kernelILi256EDF16_PKPK16rocblas_bfloat16PKPS0_EviT0_lT1_llT2_lli,comdat
	.globl	_ZL26rocblas_haxpy_mlt_8_kernelILi256EDF16_PKPK16rocblas_bfloat16PKPS0_EviT0_lT1_llT2_lli ; -- Begin function _ZL26rocblas_haxpy_mlt_8_kernelILi256EDF16_PKPK16rocblas_bfloat16PKPS0_EviT0_lT1_llT2_lli
	.p2align	8
	.type	_ZL26rocblas_haxpy_mlt_8_kernelILi256EDF16_PKPK16rocblas_bfloat16PKPS0_EviT0_lT1_llT2_lli,@function
_ZL26rocblas_haxpy_mlt_8_kernelILi256EDF16_PKPK16rocblas_bfloat16PKPS0_EviT0_lT1_llT2_lli: ; @_ZL26rocblas_haxpy_mlt_8_kernelILi256EDF16_PKPK16rocblas_bfloat16PKPS0_EviT0_lT1_llT2_lli
; %bb.0:
	s_load_b32 s12, s[0:1], 0x40
	s_bfe_u32 s2, ttmp6, 0x40014
	s_lshr_b32 s3, ttmp7, 16
	s_add_co_i32 s2, s2, 1
	s_bfe_u32 s5, ttmp6, 0x40008
	s_mul_i32 s4, s3, s2
	s_getreg_b32 s2, hwreg(HW_REG_IB_STS2, 6, 4)
	s_add_co_i32 s5, s5, s4
	s_cmp_eq_u32 s2, 0
	s_cselect_b32 s13, s3, s5
	s_wait_kmcnt 0x0
	s_cmp_ge_u32 s13, s12
	s_cbranch_scc1 .LBB162_5
; %bb.1:
	s_load_b64 s[16:17], s[0:1], 0x0
	s_bfe_u32 s3, ttmp6, 0x4000c
	s_and_b32 s4, ttmp6, 15
	s_add_co_i32 s3, s3, 1
	s_load_b128 s[8:11], s[0:1], 0x28
	s_mul_i32 s3, ttmp9, s3
	v_mov_b32_e32 v1, 0
	s_add_co_i32 s3, s4, s3
	s_cmp_eq_u32 s2, 0
	s_load_b128 s[4:7], s[0:1], 0x10
	s_cselect_b32 s2, ttmp9, s3
	s_delay_alu instid0(SALU_CYCLE_1) | instskip(NEXT) | instid1(VALU_DEP_1)
	v_lshl_or_b32 v0, s2, 8, v0
	v_lshlrev_b64_e32 v[0:1], 3, v[0:1]
	s_wait_kmcnt 0x0
	s_pack_ll_b32_b16 s14, s17, s17
	s_delay_alu instid0(SALU_CYCLE_1) | instskip(SKIP_4) | instid1(SALU_CYCLE_1)
	s_and_b32 s0, s14, 0x7fff
	s_mov_b32 s15, s14
	s_cmp_lg_u32 s0, 0
	s_cselect_b32 s2, -1, 0
	s_ashr_i32 s17, s16, 31
	v_cmp_gt_i64_e32 vcc_lo, s[16:17], v[0:1]
	v_lshlrev_b64_e32 v[0:1], 1, v[0:1]
	s_mov_b32 s16, s14
	s_mov_b32 s17, s14
	s_lshl_b64 s[0:1], s[6:7], 1
	s_and_b32 s6, s2, vcc_lo
	s_lshl_b64 s[2:3], s[10:11], 1
	s_branch .LBB162_3
.LBB162_2:                              ;   in Loop: Header=BB162_3 Depth=1
	s_wait_xcnt 0x0
	s_or_b32 exec_lo, exec_lo, s7
	s_add_co_i32 s13, s13, 0x10000
	s_delay_alu instid0(SALU_CYCLE_1)
	s_cmp_lt_u32 s13, s12
	s_cbranch_scc0 .LBB162_5
.LBB162_3:                              ; =>This Inner Loop Header: Depth=1
	s_and_saveexec_b32 s7, s6
	s_cbranch_execz .LBB162_2
; %bb.4:                                ;   in Loop: Header=BB162_3 Depth=1
	v_mov_b32_e32 v6, s13
	s_clause 0x1
	global_load_b64 v[2:3], v6, s[8:9] scale_offset
	global_load_b64 v[4:5], v6, s[4:5] scale_offset
	s_wait_loadcnt 0x1
	v_add_nc_u64_e32 v[2:3], s[2:3], v[2:3]
	s_wait_loadcnt 0x0
	v_add_nc_u64_e32 v[4:5], s[0:1], v[4:5]
	s_delay_alu instid0(VALU_DEP_2) | instskip(NEXT) | instid1(VALU_DEP_2)
	v_add_nc_u64_e32 v[10:11], v[2:3], v[0:1]
	v_add_nc_u64_e32 v[12:13], v[4:5], v[0:1]
	flat_load_b128 v[2:5], v[10:11]
	flat_load_b128 v[6:9], v[12:13]
	s_wait_loadcnt_dscnt 0x0
	v_pk_fma_f16 v5, s17, v9, v5
	v_pk_fma_f16 v4, s16, v8, v4
	;; [unrolled: 1-line block ×4, first 2 shown]
	flat_store_b128 v[10:11], v[2:5]
	s_branch .LBB162_2
.LBB162_5:
	s_endpgm
	.section	.rodata,"a",@progbits
	.p2align	6, 0x0
	.amdhsa_kernel _ZL26rocblas_haxpy_mlt_8_kernelILi256EDF16_PKPK16rocblas_bfloat16PKPS0_EviT0_lT1_llT2_lli
		.amdhsa_group_segment_fixed_size 0
		.amdhsa_private_segment_fixed_size 0
		.amdhsa_kernarg_size 68
		.amdhsa_user_sgpr_count 2
		.amdhsa_user_sgpr_dispatch_ptr 0
		.amdhsa_user_sgpr_queue_ptr 0
		.amdhsa_user_sgpr_kernarg_segment_ptr 1
		.amdhsa_user_sgpr_dispatch_id 0
		.amdhsa_user_sgpr_kernarg_preload_length 0
		.amdhsa_user_sgpr_kernarg_preload_offset 0
		.amdhsa_user_sgpr_private_segment_size 0
		.amdhsa_wavefront_size32 1
		.amdhsa_uses_dynamic_stack 0
		.amdhsa_enable_private_segment 0
		.amdhsa_system_sgpr_workgroup_id_x 1
		.amdhsa_system_sgpr_workgroup_id_y 0
		.amdhsa_system_sgpr_workgroup_id_z 1
		.amdhsa_system_sgpr_workgroup_info 0
		.amdhsa_system_vgpr_workitem_id 0
		.amdhsa_next_free_vgpr 14
		.amdhsa_next_free_sgpr 18
		.amdhsa_named_barrier_count 0
		.amdhsa_reserve_vcc 1
		.amdhsa_float_round_mode_32 0
		.amdhsa_float_round_mode_16_64 0
		.amdhsa_float_denorm_mode_32 3
		.amdhsa_float_denorm_mode_16_64 3
		.amdhsa_fp16_overflow 0
		.amdhsa_memory_ordered 1
		.amdhsa_forward_progress 1
		.amdhsa_inst_pref_size 3
		.amdhsa_round_robin_scheduling 0
		.amdhsa_exception_fp_ieee_invalid_op 0
		.amdhsa_exception_fp_denorm_src 0
		.amdhsa_exception_fp_ieee_div_zero 0
		.amdhsa_exception_fp_ieee_overflow 0
		.amdhsa_exception_fp_ieee_underflow 0
		.amdhsa_exception_fp_ieee_inexact 0
		.amdhsa_exception_int_div_zero 0
	.end_amdhsa_kernel
	.section	.text._ZL26rocblas_haxpy_mlt_8_kernelILi256EDF16_PKPK16rocblas_bfloat16PKPS0_EviT0_lT1_llT2_lli,"axG",@progbits,_ZL26rocblas_haxpy_mlt_8_kernelILi256EDF16_PKPK16rocblas_bfloat16PKPS0_EviT0_lT1_llT2_lli,comdat
.Lfunc_end162:
	.size	_ZL26rocblas_haxpy_mlt_8_kernelILi256EDF16_PKPK16rocblas_bfloat16PKPS0_EviT0_lT1_llT2_lli, .Lfunc_end162-_ZL26rocblas_haxpy_mlt_8_kernelILi256EDF16_PKPK16rocblas_bfloat16PKPS0_EviT0_lT1_llT2_lli
                                        ; -- End function
	.set _ZL26rocblas_haxpy_mlt_8_kernelILi256EDF16_PKPK16rocblas_bfloat16PKPS0_EviT0_lT1_llT2_lli.num_vgpr, 14
	.set _ZL26rocblas_haxpy_mlt_8_kernelILi256EDF16_PKPK16rocblas_bfloat16PKPS0_EviT0_lT1_llT2_lli.num_agpr, 0
	.set _ZL26rocblas_haxpy_mlt_8_kernelILi256EDF16_PKPK16rocblas_bfloat16PKPS0_EviT0_lT1_llT2_lli.numbered_sgpr, 18
	.set _ZL26rocblas_haxpy_mlt_8_kernelILi256EDF16_PKPK16rocblas_bfloat16PKPS0_EviT0_lT1_llT2_lli.num_named_barrier, 0
	.set _ZL26rocblas_haxpy_mlt_8_kernelILi256EDF16_PKPK16rocblas_bfloat16PKPS0_EviT0_lT1_llT2_lli.private_seg_size, 0
	.set _ZL26rocblas_haxpy_mlt_8_kernelILi256EDF16_PKPK16rocblas_bfloat16PKPS0_EviT0_lT1_llT2_lli.uses_vcc, 1
	.set _ZL26rocblas_haxpy_mlt_8_kernelILi256EDF16_PKPK16rocblas_bfloat16PKPS0_EviT0_lT1_llT2_lli.uses_flat_scratch, 0
	.set _ZL26rocblas_haxpy_mlt_8_kernelILi256EDF16_PKPK16rocblas_bfloat16PKPS0_EviT0_lT1_llT2_lli.has_dyn_sized_stack, 0
	.set _ZL26rocblas_haxpy_mlt_8_kernelILi256EDF16_PKPK16rocblas_bfloat16PKPS0_EviT0_lT1_llT2_lli.has_recursion, 0
	.set _ZL26rocblas_haxpy_mlt_8_kernelILi256EDF16_PKPK16rocblas_bfloat16PKPS0_EviT0_lT1_llT2_lli.has_indirect_call, 0
	.section	.AMDGPU.csdata,"",@progbits
; Kernel info:
; codeLenInByte = 384
; TotalNumSgprs: 20
; NumVgprs: 14
; ScratchSize: 0
; MemoryBound: 1
; FloatMode: 240
; IeeeMode: 1
; LDSByteSize: 0 bytes/workgroup (compile time only)
; SGPRBlocks: 0
; VGPRBlocks: 0
; NumSGPRsForWavesPerEU: 20
; NumVGPRsForWavesPerEU: 14
; NamedBarCnt: 0
; Occupancy: 16
; WaveLimiterHint : 1
; COMPUTE_PGM_RSRC2:SCRATCH_EN: 0
; COMPUTE_PGM_RSRC2:USER_SGPR: 2
; COMPUTE_PGM_RSRC2:TRAP_HANDLER: 0
; COMPUTE_PGM_RSRC2:TGID_X_EN: 1
; COMPUTE_PGM_RSRC2:TGID_Y_EN: 0
; COMPUTE_PGM_RSRC2:TGID_Z_EN: 1
; COMPUTE_PGM_RSRC2:TIDIG_COMP_CNT: 0
	.section	.text._ZL26rocblas_haxpy_mod_8_kernelILi256E16rocblas_bfloat16PKPKS0_PKPS0_EviT0_lT1_llT2_lli,"axG",@progbits,_ZL26rocblas_haxpy_mod_8_kernelILi256E16rocblas_bfloat16PKPKS0_PKPS0_EviT0_lT1_llT2_lli,comdat
	.globl	_ZL26rocblas_haxpy_mod_8_kernelILi256E16rocblas_bfloat16PKPKS0_PKPS0_EviT0_lT1_llT2_lli ; -- Begin function _ZL26rocblas_haxpy_mod_8_kernelILi256E16rocblas_bfloat16PKPKS0_PKPS0_EviT0_lT1_llT2_lli
	.p2align	8
	.type	_ZL26rocblas_haxpy_mod_8_kernelILi256E16rocblas_bfloat16PKPKS0_PKPS0_EviT0_lT1_llT2_lli,@function
_ZL26rocblas_haxpy_mod_8_kernelILi256E16rocblas_bfloat16PKPKS0_PKPS0_EviT0_lT1_llT2_lli: ; @_ZL26rocblas_haxpy_mod_8_kernelILi256E16rocblas_bfloat16PKPKS0_PKPS0_EviT0_lT1_llT2_lli
; %bb.0:
	s_load_b32 s12, s[0:1], 0x40
	s_bfe_u32 s2, ttmp6, 0x40014
	s_lshr_b32 s3, ttmp7, 16
	s_add_co_i32 s2, s2, 1
	s_bfe_u32 s5, ttmp6, 0x40008
	s_mul_i32 s4, s3, s2
	s_getreg_b32 s2, hwreg(HW_REG_IB_STS2, 6, 4)
	s_add_co_i32 s5, s5, s4
	s_cmp_eq_u32 s2, 0
	s_cselect_b32 s13, s3, s5
	s_wait_kmcnt 0x0
	s_cmp_ge_u32 s13, s12
	s_cbranch_scc1 .LBB163_13
; %bb.1:
	s_clause 0x1
	s_load_b64 s[14:15], s[0:1], 0x0
	s_load_b128 s[4:7], s[0:1], 0x10
	s_bfe_u32 s3, ttmp6, 0x4000c
	s_load_b128 s[8:11], s[0:1], 0x28
	s_add_co_i32 s3, s3, 1
	s_and_b32 s16, ttmp6, 15
	s_mul_i32 s3, ttmp9, s3
	v_mov_b32_e32 v1, 0
	s_add_co_i32 s16, s16, s3
	s_cmp_eq_u32 s2, 0
	s_wait_xcnt 0x0
	s_cselect_b32 s0, ttmp9, s16
	s_delay_alu instid0(SALU_CYCLE_1)
	v_lshl_or_b32 v0, s0, 8, v0
	s_wait_kmcnt 0x0
	s_and_b32 s1, s15, 0x7fff
	s_mov_b32 s0, s14
	s_cmp_lg_u32 s1, 0
	s_cselect_b32 s2, -1, 0
	s_ashr_i32 s1, s14, 31
	s_lshl_b32 s14, s15, 16
	v_cmp_gt_i64_e32 vcc_lo, s[0:1], v[0:1]
	s_lshl_b64 s[0:1], s[6:7], 1
	s_and_b32 s15, vcc_lo, s2
	s_lshl_b64 s[2:3], s[10:11], 1
	s_branch .LBB163_4
.LBB163_2:                              ;   in Loop: Header=BB163_4 Depth=1
	s_or_b32 exec_lo, exec_lo, s6
	flat_store_d16_hi_b16 v[2:3], v5
.LBB163_3:                              ;   in Loop: Header=BB163_4 Depth=1
	s_wait_xcnt 0x0
	s_or_b32 exec_lo, exec_lo, s10
	s_add_co_i32 s13, s13, 0x10000
	s_delay_alu instid0(SALU_CYCLE_1)
	s_cmp_lt_u32 s13, s12
	s_cbranch_scc0 .LBB163_13
.LBB163_4:                              ; =>This Inner Loop Header: Depth=1
	s_and_saveexec_b32 s10, s15
	s_cbranch_execz .LBB163_3
; %bb.5:                                ;   in Loop: Header=BB163_4 Depth=1
	s_load_b64 s[6:7], s[4:5], s13 offset:0x0 scale_offset
                                        ; implicit-def: $vgpr4
	s_wait_kmcnt 0x0
	s_add_nc_u64 s[6:7], s[6:7], s[0:1]
	s_delay_alu instid0(SALU_CYCLE_1)
	v_lshl_add_u64 v[2:3], v[0:1], 1, s[6:7]
	s_mov_b32 s6, exec_lo
	flat_load_u16 v2, v[2:3]
	s_wait_loadcnt_dscnt 0x0
	s_wait_xcnt 0x0
	v_lshlrev_b32_e32 v2, 16, v2
	s_delay_alu instid0(VALU_DEP_1) | instskip(NEXT) | instid1(VALU_DEP_1)
	v_mul_f32_e32 v2, s14, v2
	v_and_b32_e32 v3, 0x7f800000, v2
	s_delay_alu instid0(VALU_DEP_1)
	v_cmpx_ne_u32_e32 0x7f800000, v3
	s_xor_b32 s6, exec_lo, s6
; %bb.6:                                ;   in Loop: Header=BB163_4 Depth=1
	v_bfe_u32 v3, v2, 16, 1
	s_delay_alu instid0(VALU_DEP_1)
	v_add3_u32 v4, v2, v3, 0x7fff
                                        ; implicit-def: $vgpr2
; %bb.7:                                ;   in Loop: Header=BB163_4 Depth=1
	s_or_saveexec_b32 s11, s6
	s_load_b64 s[6:7], s[8:9], s13 offset:0x0 scale_offset
	s_xor_b32 exec_lo, exec_lo, s11
; %bb.8:                                ;   in Loop: Header=BB163_4 Depth=1
	v_and_b32_e32 v3, 0xffff, v2
	v_or_b32_e32 v4, 0x10000, v2
	s_delay_alu instid0(VALU_DEP_2) | instskip(NEXT) | instid1(VALU_DEP_2)
	v_cmp_eq_u32_e32 vcc_lo, 0, v3
	v_cndmask_b32_e32 v4, v4, v2, vcc_lo
; %bb.9:                                ;   in Loop: Header=BB163_4 Depth=1
	s_or_b32 exec_lo, exec_lo, s11
	s_wait_kmcnt 0x0
	s_add_nc_u64 s[6:7], s[6:7], s[2:3]
	s_delay_alu instid0(VALU_DEP_1) | instskip(SKIP_4) | instid1(VALU_DEP_1)
	v_and_b32_e32 v4, 0xffff0000, v4
	v_lshl_add_u64 v[2:3], v[0:1], 1, s[6:7]
	flat_load_u16 v5, v[2:3]
	s_wait_loadcnt_dscnt 0x0
	v_lshlrev_b32_e32 v5, 16, v5
	v_add_f32_e32 v4, v4, v5
	s_delay_alu instid0(VALU_DEP_1) | instskip(NEXT) | instid1(VALU_DEP_1)
	v_and_b32_e32 v5, 0x7f800000, v4
	v_cmp_ne_u32_e32 vcc_lo, 0x7f800000, v5
                                        ; implicit-def: $vgpr5
	s_wait_xcnt 0x0
	s_and_saveexec_b32 s6, vcc_lo
	s_delay_alu instid0(SALU_CYCLE_1)
	s_xor_b32 s6, exec_lo, s6
; %bb.10:                               ;   in Loop: Header=BB163_4 Depth=1
	v_bfe_u32 v5, v4, 16, 1
	s_delay_alu instid0(VALU_DEP_1)
	v_add3_u32 v5, v4, v5, 0x7fff
                                        ; implicit-def: $vgpr4
; %bb.11:                               ;   in Loop: Header=BB163_4 Depth=1
	s_and_not1_saveexec_b32 s6, s6
	s_cbranch_execz .LBB163_2
; %bb.12:                               ;   in Loop: Header=BB163_4 Depth=1
	v_and_b32_e32 v5, 0xffff, v4
	v_or_b32_e32 v6, 0x10000, v4
	s_delay_alu instid0(VALU_DEP_2) | instskip(NEXT) | instid1(VALU_DEP_2)
	v_cmp_eq_u32_e32 vcc_lo, 0, v5
	v_cndmask_b32_e32 v5, v6, v4, vcc_lo
	s_branch .LBB163_2
.LBB163_13:
	s_endpgm
	.section	.rodata,"a",@progbits
	.p2align	6, 0x0
	.amdhsa_kernel _ZL26rocblas_haxpy_mod_8_kernelILi256E16rocblas_bfloat16PKPKS0_PKPS0_EviT0_lT1_llT2_lli
		.amdhsa_group_segment_fixed_size 0
		.amdhsa_private_segment_fixed_size 0
		.amdhsa_kernarg_size 68
		.amdhsa_user_sgpr_count 2
		.amdhsa_user_sgpr_dispatch_ptr 0
		.amdhsa_user_sgpr_queue_ptr 0
		.amdhsa_user_sgpr_kernarg_segment_ptr 1
		.amdhsa_user_sgpr_dispatch_id 0
		.amdhsa_user_sgpr_kernarg_preload_length 0
		.amdhsa_user_sgpr_kernarg_preload_offset 0
		.amdhsa_user_sgpr_private_segment_size 0
		.amdhsa_wavefront_size32 1
		.amdhsa_uses_dynamic_stack 0
		.amdhsa_enable_private_segment 0
		.amdhsa_system_sgpr_workgroup_id_x 1
		.amdhsa_system_sgpr_workgroup_id_y 0
		.amdhsa_system_sgpr_workgroup_id_z 1
		.amdhsa_system_sgpr_workgroup_info 0
		.amdhsa_system_vgpr_workitem_id 0
		.amdhsa_next_free_vgpr 7
		.amdhsa_next_free_sgpr 17
		.amdhsa_named_barrier_count 0
		.amdhsa_reserve_vcc 1
		.amdhsa_float_round_mode_32 0
		.amdhsa_float_round_mode_16_64 0
		.amdhsa_float_denorm_mode_32 3
		.amdhsa_float_denorm_mode_16_64 3
		.amdhsa_fp16_overflow 0
		.amdhsa_memory_ordered 1
		.amdhsa_forward_progress 1
		.amdhsa_inst_pref_size 5
		.amdhsa_round_robin_scheduling 0
		.amdhsa_exception_fp_ieee_invalid_op 0
		.amdhsa_exception_fp_denorm_src 0
		.amdhsa_exception_fp_ieee_div_zero 0
		.amdhsa_exception_fp_ieee_overflow 0
		.amdhsa_exception_fp_ieee_underflow 0
		.amdhsa_exception_fp_ieee_inexact 0
		.amdhsa_exception_int_div_zero 0
	.end_amdhsa_kernel
	.section	.text._ZL26rocblas_haxpy_mod_8_kernelILi256E16rocblas_bfloat16PKPKS0_PKPS0_EviT0_lT1_llT2_lli,"axG",@progbits,_ZL26rocblas_haxpy_mod_8_kernelILi256E16rocblas_bfloat16PKPKS0_PKPS0_EviT0_lT1_llT2_lli,comdat
.Lfunc_end163:
	.size	_ZL26rocblas_haxpy_mod_8_kernelILi256E16rocblas_bfloat16PKPKS0_PKPS0_EviT0_lT1_llT2_lli, .Lfunc_end163-_ZL26rocblas_haxpy_mod_8_kernelILi256E16rocblas_bfloat16PKPKS0_PKPS0_EviT0_lT1_llT2_lli
                                        ; -- End function
	.set _ZL26rocblas_haxpy_mod_8_kernelILi256E16rocblas_bfloat16PKPKS0_PKPS0_EviT0_lT1_llT2_lli.num_vgpr, 7
	.set _ZL26rocblas_haxpy_mod_8_kernelILi256E16rocblas_bfloat16PKPKS0_PKPS0_EviT0_lT1_llT2_lli.num_agpr, 0
	.set _ZL26rocblas_haxpy_mod_8_kernelILi256E16rocblas_bfloat16PKPKS0_PKPS0_EviT0_lT1_llT2_lli.numbered_sgpr, 17
	.set _ZL26rocblas_haxpy_mod_8_kernelILi256E16rocblas_bfloat16PKPKS0_PKPS0_EviT0_lT1_llT2_lli.num_named_barrier, 0
	.set _ZL26rocblas_haxpy_mod_8_kernelILi256E16rocblas_bfloat16PKPKS0_PKPS0_EviT0_lT1_llT2_lli.private_seg_size, 0
	.set _ZL26rocblas_haxpy_mod_8_kernelILi256E16rocblas_bfloat16PKPKS0_PKPS0_EviT0_lT1_llT2_lli.uses_vcc, 1
	.set _ZL26rocblas_haxpy_mod_8_kernelILi256E16rocblas_bfloat16PKPKS0_PKPS0_EviT0_lT1_llT2_lli.uses_flat_scratch, 0
	.set _ZL26rocblas_haxpy_mod_8_kernelILi256E16rocblas_bfloat16PKPKS0_PKPS0_EviT0_lT1_llT2_lli.has_dyn_sized_stack, 0
	.set _ZL26rocblas_haxpy_mod_8_kernelILi256E16rocblas_bfloat16PKPKS0_PKPS0_EviT0_lT1_llT2_lli.has_recursion, 0
	.set _ZL26rocblas_haxpy_mod_8_kernelILi256E16rocblas_bfloat16PKPKS0_PKPS0_EviT0_lT1_llT2_lli.has_indirect_call, 0
	.section	.AMDGPU.csdata,"",@progbits
; Kernel info:
; codeLenInByte = 564
; TotalNumSgprs: 19
; NumVgprs: 7
; ScratchSize: 0
; MemoryBound: 0
; FloatMode: 240
; IeeeMode: 1
; LDSByteSize: 0 bytes/workgroup (compile time only)
; SGPRBlocks: 0
; VGPRBlocks: 0
; NumSGPRsForWavesPerEU: 19
; NumVGPRsForWavesPerEU: 7
; NamedBarCnt: 0
; Occupancy: 16
; WaveLimiterHint : 1
; COMPUTE_PGM_RSRC2:SCRATCH_EN: 0
; COMPUTE_PGM_RSRC2:USER_SGPR: 2
; COMPUTE_PGM_RSRC2:TRAP_HANDLER: 0
; COMPUTE_PGM_RSRC2:TGID_X_EN: 1
; COMPUTE_PGM_RSRC2:TGID_Y_EN: 0
; COMPUTE_PGM_RSRC2:TGID_Z_EN: 1
; COMPUTE_PGM_RSRC2:TIDIG_COMP_CNT: 0
	.section	.text._ZL22rocblas_saxpy_2_kernelILi256EfPK16rocblas_bfloat16PKS2_PKPS0_EviT1_lT2_llT3_lli,"axG",@progbits,_ZL22rocblas_saxpy_2_kernelILi256EfPK16rocblas_bfloat16PKS2_PKPS0_EviT1_lT2_llT3_lli,comdat
	.globl	_ZL22rocblas_saxpy_2_kernelILi256EfPK16rocblas_bfloat16PKS2_PKPS0_EviT1_lT2_llT3_lli ; -- Begin function _ZL22rocblas_saxpy_2_kernelILi256EfPK16rocblas_bfloat16PKS2_PKPS0_EviT1_lT2_llT3_lli
	.p2align	8
	.type	_ZL22rocblas_saxpy_2_kernelILi256EfPK16rocblas_bfloat16PKS2_PKPS0_EviT1_lT2_llT3_lli,@function
_ZL22rocblas_saxpy_2_kernelILi256EfPK16rocblas_bfloat16PKS2_PKPS0_EviT1_lT2_llT3_lli: ; @_ZL22rocblas_saxpy_2_kernelILi256EfPK16rocblas_bfloat16PKS2_PKPS0_EviT1_lT2_llT3_lli
; %bb.0:
	s_load_b32 s16, s[0:1], 0x48
	s_bfe_u32 s2, ttmp6, 0x40014
	s_lshr_b32 s3, ttmp7, 16
	s_add_co_i32 s2, s2, 1
	s_bfe_u32 s4, ttmp6, 0x40008
	s_mul_i32 s2, s3, s2
	s_getreg_b32 s17, hwreg(HW_REG_IB_STS2, 6, 4)
	s_add_co_i32 s4, s4, s2
	s_cmp_eq_u32 s17, 0
	s_cselect_b32 s2, s3, s4
	s_mov_b32 s3, 0
	s_wait_kmcnt 0x0
	s_cmp_ge_u32 s2, s16
	s_cbranch_scc1 .LBB164_33
; %bb.1:
	s_clause 0x1
	s_load_b32 s18, s[0:1], 0x0
	s_load_b256 s[4:11], s[0:1], 0x8
	s_bfe_u32 s19, ttmp6, 0x4000c
	s_load_b128 s[12:15], s[0:1], 0x30
	s_add_co_i32 s19, s19, 1
	s_wait_xcnt 0x0
	s_and_b32 s0, ttmp6, 15
	s_mul_i32 s1, ttmp9, s19
	v_dual_mov_b32 v1, 0 :: v_dual_lshlrev_b32 v0, 1, v0
	s_add_co_i32 s0, s0, s1
	s_cmp_eq_u32 s17, 0
	s_cselect_b32 s0, ttmp9, s0
	s_delay_alu instid0(VALU_DEP_1) | instid1(SALU_CYCLE_1)
	v_lshl_or_b32 v0, s0, 9, v0
	s_delay_alu instid0(VALU_DEP_1) | instskip(SKIP_2) | instid1(SALU_CYCLE_1)
	v_lshlrev_b64_e32 v[2:3], 1, v[0:1]
	s_wait_kmcnt 0x0
	s_add_co_i32 s0, s18, -1
	s_ashr_i32 s1, s0, 31
	s_bitcmp1_b32 s18, 0
	v_cmp_eq_u64_e32 vcc_lo, s[0:1], v[0:1]
	v_cmp_gt_i64_e64 s0, s[0:1], v[0:1]
	s_cselect_b32 s1, -1, 0
	s_lshl_b64 s[10:11], s[10:11], 1
	s_lshl_b64 s[14:15], s[14:15], 1
	s_and_b32 s1, s1, vcc_lo
	s_branch .LBB164_5
.LBB164_2:                              ;   in Loop: Header=BB164_5 Depth=1
	s_or_b32 exec_lo, exec_lo, s18
	flat_store_d16_hi_b16 v[4:5], v6
.LBB164_3:                              ;   in Loop: Header=BB164_5 Depth=1
	s_wait_xcnt 0x0
	s_or_b32 exec_lo, exec_lo, s17
.LBB164_4:                              ;   in Loop: Header=BB164_5 Depth=1
	s_add_co_i32 s2, s2, 0x10000
	s_delay_alu instid0(SALU_CYCLE_1)
	s_cmp_lt_u32 s2, s16
	s_cbranch_scc0 .LBB164_33
.LBB164_5:                              ; =>This Inner Loop Header: Depth=1
	s_wait_xcnt 0x0
	s_mul_u64 s[18:19], s[6:7], s[2:3]
	s_delay_alu instid0(SALU_CYCLE_1) | instskip(NEXT) | instid1(SALU_CYCLE_1)
	s_lshl_b64 s[18:19], s[18:19], 1
	s_add_nc_u64 s[18:19], s[4:5], s[18:19]
	global_load_u16 v0, v1, s[18:19]
	s_wait_loadcnt 0x0
	v_and_b32_e32 v4, 0x7fff, v0
	s_delay_alu instid0(VALU_DEP_1)
	v_cmp_eq_u32_e32 vcc_lo, 0, v4
	s_cbranch_vccnz .LBB164_4
; %bb.6:                                ;   in Loop: Header=BB164_5 Depth=1
	s_wait_xcnt 0x0
	s_lshl_b64 s[18:19], s[2:3], 3
	v_lshlrev_b32_e32 v6, 16, v0
	s_add_nc_u64 s[20:21], s[12:13], s[18:19]
	s_add_nc_u64 s[18:19], s[8:9], s[18:19]
	s_load_b64 s[22:23], s[20:21], 0x0
	s_load_b64 s[24:25], s[18:19], 0x0
	s_wait_kmcnt 0x0
	s_wait_xcnt 0x0
	s_add_nc_u64 s[18:19], s[22:23], s[14:15]
	s_add_nc_u64 s[20:21], s[24:25], s[10:11]
	v_add_nc_u64_e32 v[4:5], s[18:19], v[2:3]
	v_add_nc_u64_e32 v[8:9], s[20:21], v[2:3]
	s_and_saveexec_b32 s17, s0
	s_cbranch_execz .LBB164_24
; %bb.7:                                ;   in Loop: Header=BB164_5 Depth=1
	flat_load_u16 v7, v[8:9]
	flat_load_u16 v0, v[4:5]
	s_wait_loadcnt_dscnt 0x101
	v_lshlrev_b32_e32 v7, 16, v7
	s_delay_alu instid0(VALU_DEP_1) | instskip(NEXT) | instid1(VALU_DEP_1)
	v_mov_b32_e32 v10, v7
	v_pk_mul_f32 v[10:11], v[10:11], v[6:7]
	s_delay_alu instid0(VALU_DEP_1) | instskip(NEXT) | instid1(VALU_DEP_1)
	v_and_b32_e32 v7, 0x7f800000, v10
	v_cmp_ne_u32_e32 vcc_lo, 0x7f800000, v7
                                        ; implicit-def: $vgpr7
	s_wait_xcnt 0x0
	s_and_saveexec_b32 s18, vcc_lo
	s_delay_alu instid0(SALU_CYCLE_1)
	s_xor_b32 s18, exec_lo, s18
; %bb.8:                                ;   in Loop: Header=BB164_5 Depth=1
	v_bfe_u32 v7, v10, 16, 1
	s_delay_alu instid0(VALU_DEP_1)
	v_add3_u32 v7, v10, v7, 0x7fff
                                        ; implicit-def: $vgpr10_vgpr11
; %bb.9:                                ;   in Loop: Header=BB164_5 Depth=1
	s_and_not1_saveexec_b32 s18, s18
; %bb.10:                               ;   in Loop: Header=BB164_5 Depth=1
	v_and_b32_e32 v7, 0xffff, v10
	v_or_b32_e32 v11, 0x10000, v10
	s_delay_alu instid0(VALU_DEP_2) | instskip(NEXT) | instid1(VALU_DEP_2)
	v_cmp_eq_u32_e32 vcc_lo, 0, v7
	v_cndmask_b32_e32 v7, v11, v10, vcc_lo
; %bb.11:                               ;   in Loop: Header=BB164_5 Depth=1
	s_or_b32 exec_lo, exec_lo, s18
	s_delay_alu instid0(VALU_DEP_1) | instskip(SKIP_2) | instid1(VALU_DEP_1)
	v_and_b32_e32 v7, 0xffff0000, v7
	s_wait_loadcnt_dscnt 0x0
	v_lshlrev_b32_e32 v0, 16, v0
	v_add_f32_e32 v0, v0, v7
	s_delay_alu instid0(VALU_DEP_1) | instskip(NEXT) | instid1(VALU_DEP_1)
	v_and_b32_e32 v7, 0x7f800000, v0
	v_cmp_ne_u32_e32 vcc_lo, 0x7f800000, v7
                                        ; implicit-def: $vgpr7
	s_and_saveexec_b32 s18, vcc_lo
	s_delay_alu instid0(SALU_CYCLE_1)
	s_xor_b32 s18, exec_lo, s18
; %bb.12:                               ;   in Loop: Header=BB164_5 Depth=1
	v_bfe_u32 v7, v0, 16, 1
	s_delay_alu instid0(VALU_DEP_1)
	v_add3_u32 v7, v0, v7, 0x7fff
                                        ; implicit-def: $vgpr0
; %bb.13:                               ;   in Loop: Header=BB164_5 Depth=1
	s_and_not1_saveexec_b32 s18, s18
; %bb.14:                               ;   in Loop: Header=BB164_5 Depth=1
	v_and_b32_e32 v7, 0xffff, v0
	v_or_b32_e32 v10, 0x10000, v0
	s_delay_alu instid0(VALU_DEP_2) | instskip(NEXT) | instid1(VALU_DEP_2)
	v_cmp_eq_u32_e32 vcc_lo, 0, v7
	v_cndmask_b32_e32 v7, v10, v0, vcc_lo
; %bb.15:                               ;   in Loop: Header=BB164_5 Depth=1
	s_or_b32 exec_lo, exec_lo, s18
	flat_store_d16_hi_b16 v[4:5], v7
	flat_load_u16 v7, v[8:9] offset:2
	flat_load_u16 v0, v[4:5] offset:2
	s_wait_loadcnt_dscnt 0x101
	v_lshlrev_b32_e32 v7, 16, v7
	s_delay_alu instid0(VALU_DEP_1) | instskip(NEXT) | instid1(VALU_DEP_1)
	v_mul_f32_e32 v7, v6, v7
	v_and_b32_e32 v10, 0x7f800000, v7
	s_delay_alu instid0(VALU_DEP_1) | instskip(SKIP_2) | instid1(SALU_CYCLE_1)
	v_cmp_ne_u32_e32 vcc_lo, 0x7f800000, v10
                                        ; implicit-def: $vgpr10
	s_wait_xcnt 0x0
	s_and_saveexec_b32 s18, vcc_lo
	s_xor_b32 s18, exec_lo, s18
; %bb.16:                               ;   in Loop: Header=BB164_5 Depth=1
	v_bfe_u32 v10, v7, 16, 1
	s_delay_alu instid0(VALU_DEP_1)
	v_add3_u32 v10, v7, v10, 0x7fff
                                        ; implicit-def: $vgpr7
; %bb.17:                               ;   in Loop: Header=BB164_5 Depth=1
	s_and_not1_saveexec_b32 s18, s18
; %bb.18:                               ;   in Loop: Header=BB164_5 Depth=1
	v_and_b32_e32 v10, 0xffff, v7
	v_or_b32_e32 v11, 0x10000, v7
	s_delay_alu instid0(VALU_DEP_2) | instskip(NEXT) | instid1(VALU_DEP_2)
	v_cmp_eq_u32_e32 vcc_lo, 0, v10
	v_cndmask_b32_e32 v10, v11, v7, vcc_lo
; %bb.19:                               ;   in Loop: Header=BB164_5 Depth=1
	s_or_b32 exec_lo, exec_lo, s18
	s_delay_alu instid0(VALU_DEP_1) | instskip(SKIP_2) | instid1(VALU_DEP_1)
	v_and_b32_e32 v7, 0xffff0000, v10
	s_wait_loadcnt_dscnt 0x0
	v_lshlrev_b32_e32 v0, 16, v0
	v_add_f32_e32 v0, v0, v7
	s_delay_alu instid0(VALU_DEP_1) | instskip(NEXT) | instid1(VALU_DEP_1)
	v_and_b32_e32 v7, 0x7f800000, v0
	v_cmp_ne_u32_e32 vcc_lo, 0x7f800000, v7
                                        ; implicit-def: $vgpr7
	s_and_saveexec_b32 s18, vcc_lo
	s_delay_alu instid0(SALU_CYCLE_1)
	s_xor_b32 s18, exec_lo, s18
; %bb.20:                               ;   in Loop: Header=BB164_5 Depth=1
	v_bfe_u32 v7, v0, 16, 1
	s_delay_alu instid0(VALU_DEP_1)
	v_add3_u32 v7, v0, v7, 0x7fff
                                        ; implicit-def: $vgpr0
; %bb.21:                               ;   in Loop: Header=BB164_5 Depth=1
	s_and_not1_saveexec_b32 s18, s18
; %bb.22:                               ;   in Loop: Header=BB164_5 Depth=1
	v_and_b32_e32 v7, 0xffff, v0
	v_or_b32_e32 v10, 0x10000, v0
	s_delay_alu instid0(VALU_DEP_2) | instskip(NEXT) | instid1(VALU_DEP_2)
	v_cmp_eq_u32_e32 vcc_lo, 0, v7
	v_cndmask_b32_e32 v7, v10, v0, vcc_lo
; %bb.23:                               ;   in Loop: Header=BB164_5 Depth=1
	s_or_b32 exec_lo, exec_lo, s18
	flat_store_d16_hi_b16 v[4:5], v7 offset:2
.LBB164_24:                             ;   in Loop: Header=BB164_5 Depth=1
	s_wait_xcnt 0x0
	s_or_b32 exec_lo, exec_lo, s17
	s_and_saveexec_b32 s17, s1
	s_cbranch_execz .LBB164_3
; %bb.25:                               ;   in Loop: Header=BB164_5 Depth=1
	flat_load_u16 v7, v[8:9]
	flat_load_u16 v0, v[4:5]
	s_wait_loadcnt_dscnt 0x101
	v_lshlrev_b32_e32 v7, 16, v7
	s_delay_alu instid0(VALU_DEP_1) | instskip(NEXT) | instid1(VALU_DEP_1)
	v_mul_f32_e32 v6, v7, v6
	v_and_b32_e32 v7, 0x7f800000, v6
	s_delay_alu instid0(VALU_DEP_1) | instskip(SKIP_2) | instid1(SALU_CYCLE_1)
	v_cmp_ne_u32_e32 vcc_lo, 0x7f800000, v7
                                        ; implicit-def: $vgpr7
	s_wait_xcnt 0x0
	s_and_saveexec_b32 s18, vcc_lo
	s_xor_b32 s18, exec_lo, s18
; %bb.26:                               ;   in Loop: Header=BB164_5 Depth=1
	v_bfe_u32 v7, v6, 16, 1
	s_delay_alu instid0(VALU_DEP_1)
	v_add3_u32 v7, v6, v7, 0x7fff
                                        ; implicit-def: $vgpr6
; %bb.27:                               ;   in Loop: Header=BB164_5 Depth=1
	s_and_not1_saveexec_b32 s18, s18
; %bb.28:                               ;   in Loop: Header=BB164_5 Depth=1
	v_and_b32_e32 v7, 0xffff, v6
	v_or_b32_e32 v8, 0x10000, v6
	s_delay_alu instid0(VALU_DEP_2) | instskip(NEXT) | instid1(VALU_DEP_2)
	v_cmp_eq_u32_e32 vcc_lo, 0, v7
	v_cndmask_b32_e32 v7, v8, v6, vcc_lo
; %bb.29:                               ;   in Loop: Header=BB164_5 Depth=1
	s_or_b32 exec_lo, exec_lo, s18
	s_delay_alu instid0(VALU_DEP_1) | instskip(SKIP_2) | instid1(VALU_DEP_1)
	v_and_b32_e32 v6, 0xffff0000, v7
	s_wait_loadcnt_dscnt 0x0
	v_lshlrev_b32_e32 v0, 16, v0
	v_add_f32_e32 v0, v0, v6
	s_delay_alu instid0(VALU_DEP_1) | instskip(NEXT) | instid1(VALU_DEP_1)
	v_and_b32_e32 v6, 0x7f800000, v0
	v_cmp_ne_u32_e32 vcc_lo, 0x7f800000, v6
                                        ; implicit-def: $vgpr6
	s_and_saveexec_b32 s18, vcc_lo
	s_delay_alu instid0(SALU_CYCLE_1)
	s_xor_b32 s18, exec_lo, s18
; %bb.30:                               ;   in Loop: Header=BB164_5 Depth=1
	v_bfe_u32 v6, v0, 16, 1
	s_delay_alu instid0(VALU_DEP_1)
	v_add3_u32 v6, v0, v6, 0x7fff
                                        ; implicit-def: $vgpr0
; %bb.31:                               ;   in Loop: Header=BB164_5 Depth=1
	s_and_not1_saveexec_b32 s18, s18
	s_cbranch_execz .LBB164_2
; %bb.32:                               ;   in Loop: Header=BB164_5 Depth=1
	v_and_b32_e32 v6, 0xffff, v0
	v_or_b32_e32 v7, 0x10000, v0
	s_delay_alu instid0(VALU_DEP_2) | instskip(NEXT) | instid1(VALU_DEP_2)
	v_cmp_eq_u32_e32 vcc_lo, 0, v6
	v_cndmask_b32_e32 v6, v7, v0, vcc_lo
	s_branch .LBB164_2
.LBB164_33:
	s_endpgm
	.section	.rodata,"a",@progbits
	.p2align	6, 0x0
	.amdhsa_kernel _ZL22rocblas_saxpy_2_kernelILi256EfPK16rocblas_bfloat16PKS2_PKPS0_EviT1_lT2_llT3_lli
		.amdhsa_group_segment_fixed_size 0
		.amdhsa_private_segment_fixed_size 0
		.amdhsa_kernarg_size 76
		.amdhsa_user_sgpr_count 2
		.amdhsa_user_sgpr_dispatch_ptr 0
		.amdhsa_user_sgpr_queue_ptr 0
		.amdhsa_user_sgpr_kernarg_segment_ptr 1
		.amdhsa_user_sgpr_dispatch_id 0
		.amdhsa_user_sgpr_kernarg_preload_length 0
		.amdhsa_user_sgpr_kernarg_preload_offset 0
		.amdhsa_user_sgpr_private_segment_size 0
		.amdhsa_wavefront_size32 1
		.amdhsa_uses_dynamic_stack 0
		.amdhsa_enable_private_segment 0
		.amdhsa_system_sgpr_workgroup_id_x 1
		.amdhsa_system_sgpr_workgroup_id_y 0
		.amdhsa_system_sgpr_workgroup_id_z 1
		.amdhsa_system_sgpr_workgroup_info 0
		.amdhsa_system_vgpr_workitem_id 0
		.amdhsa_next_free_vgpr 12
		.amdhsa_next_free_sgpr 26
		.amdhsa_named_barrier_count 0
		.amdhsa_reserve_vcc 1
		.amdhsa_float_round_mode_32 0
		.amdhsa_float_round_mode_16_64 0
		.amdhsa_float_denorm_mode_32 3
		.amdhsa_float_denorm_mode_16_64 3
		.amdhsa_fp16_overflow 0
		.amdhsa_memory_ordered 1
		.amdhsa_forward_progress 1
		.amdhsa_inst_pref_size 10
		.amdhsa_round_robin_scheduling 0
		.amdhsa_exception_fp_ieee_invalid_op 0
		.amdhsa_exception_fp_denorm_src 0
		.amdhsa_exception_fp_ieee_div_zero 0
		.amdhsa_exception_fp_ieee_overflow 0
		.amdhsa_exception_fp_ieee_underflow 0
		.amdhsa_exception_fp_ieee_inexact 0
		.amdhsa_exception_int_div_zero 0
	.end_amdhsa_kernel
	.section	.text._ZL22rocblas_saxpy_2_kernelILi256EfPK16rocblas_bfloat16PKS2_PKPS0_EviT1_lT2_llT3_lli,"axG",@progbits,_ZL22rocblas_saxpy_2_kernelILi256EfPK16rocblas_bfloat16PKS2_PKPS0_EviT1_lT2_llT3_lli,comdat
.Lfunc_end164:
	.size	_ZL22rocblas_saxpy_2_kernelILi256EfPK16rocblas_bfloat16PKS2_PKPS0_EviT1_lT2_llT3_lli, .Lfunc_end164-_ZL22rocblas_saxpy_2_kernelILi256EfPK16rocblas_bfloat16PKS2_PKPS0_EviT1_lT2_llT3_lli
                                        ; -- End function
	.set _ZL22rocblas_saxpy_2_kernelILi256EfPK16rocblas_bfloat16PKS2_PKPS0_EviT1_lT2_llT3_lli.num_vgpr, 12
	.set _ZL22rocblas_saxpy_2_kernelILi256EfPK16rocblas_bfloat16PKS2_PKPS0_EviT1_lT2_llT3_lli.num_agpr, 0
	.set _ZL22rocblas_saxpy_2_kernelILi256EfPK16rocblas_bfloat16PKS2_PKPS0_EviT1_lT2_llT3_lli.numbered_sgpr, 26
	.set _ZL22rocblas_saxpy_2_kernelILi256EfPK16rocblas_bfloat16PKS2_PKPS0_EviT1_lT2_llT3_lli.num_named_barrier, 0
	.set _ZL22rocblas_saxpy_2_kernelILi256EfPK16rocblas_bfloat16PKS2_PKPS0_EviT1_lT2_llT3_lli.private_seg_size, 0
	.set _ZL22rocblas_saxpy_2_kernelILi256EfPK16rocblas_bfloat16PKS2_PKPS0_EviT1_lT2_llT3_lli.uses_vcc, 1
	.set _ZL22rocblas_saxpy_2_kernelILi256EfPK16rocblas_bfloat16PKS2_PKPS0_EviT1_lT2_llT3_lli.uses_flat_scratch, 0
	.set _ZL22rocblas_saxpy_2_kernelILi256EfPK16rocblas_bfloat16PKS2_PKPS0_EviT1_lT2_llT3_lli.has_dyn_sized_stack, 0
	.set _ZL22rocblas_saxpy_2_kernelILi256EfPK16rocblas_bfloat16PKS2_PKPS0_EviT1_lT2_llT3_lli.has_recursion, 0
	.set _ZL22rocblas_saxpy_2_kernelILi256EfPK16rocblas_bfloat16PKS2_PKPS0_EviT1_lT2_llT3_lli.has_indirect_call, 0
	.section	.AMDGPU.csdata,"",@progbits
; Kernel info:
; codeLenInByte = 1180
; TotalNumSgprs: 28
; NumVgprs: 12
; ScratchSize: 0
; MemoryBound: 0
; FloatMode: 240
; IeeeMode: 1
; LDSByteSize: 0 bytes/workgroup (compile time only)
; SGPRBlocks: 0
; VGPRBlocks: 0
; NumSGPRsForWavesPerEU: 28
; NumVGPRsForWavesPerEU: 12
; NamedBarCnt: 0
; Occupancy: 16
; WaveLimiterHint : 1
; COMPUTE_PGM_RSRC2:SCRATCH_EN: 0
; COMPUTE_PGM_RSRC2:USER_SGPR: 2
; COMPUTE_PGM_RSRC2:TRAP_HANDLER: 0
; COMPUTE_PGM_RSRC2:TGID_X_EN: 1
; COMPUTE_PGM_RSRC2:TGID_Y_EN: 0
; COMPUTE_PGM_RSRC2:TGID_Z_EN: 1
; COMPUTE_PGM_RSRC2:TIDIG_COMP_CNT: 0
	.section	.text._ZL22rocblas_saxpy_2_kernelILi256Ef16rocblas_bfloat16PKPKS0_PKPS0_EviT1_lT2_llT3_lli,"axG",@progbits,_ZL22rocblas_saxpy_2_kernelILi256Ef16rocblas_bfloat16PKPKS0_PKPS0_EviT1_lT2_llT3_lli,comdat
	.globl	_ZL22rocblas_saxpy_2_kernelILi256Ef16rocblas_bfloat16PKPKS0_PKPS0_EviT1_lT2_llT3_lli ; -- Begin function _ZL22rocblas_saxpy_2_kernelILi256Ef16rocblas_bfloat16PKPKS0_PKPS0_EviT1_lT2_llT3_lli
	.p2align	8
	.type	_ZL22rocblas_saxpy_2_kernelILi256Ef16rocblas_bfloat16PKPKS0_PKPS0_EviT1_lT2_llT3_lli,@function
_ZL22rocblas_saxpy_2_kernelILi256Ef16rocblas_bfloat16PKPKS0_PKPS0_EviT1_lT2_llT3_lli: ; @_ZL22rocblas_saxpy_2_kernelILi256Ef16rocblas_bfloat16PKPKS0_PKPS0_EviT1_lT2_llT3_lli
; %bb.0:
	s_load_b32 s12, s[0:1], 0x40
	s_bfe_u32 s2, ttmp6, 0x40014
	s_lshr_b32 s3, ttmp7, 16
	s_add_co_i32 s2, s2, 1
	s_bfe_u32 s5, ttmp6, 0x40008
	s_mul_i32 s4, s3, s2
	s_getreg_b32 s2, hwreg(HW_REG_IB_STS2, 6, 4)
	s_add_co_i32 s5, s5, s4
	s_cmp_eq_u32 s2, 0
	s_cselect_b32 s13, s3, s5
	s_wait_kmcnt 0x0
	s_cmp_ge_u32 s13, s12
	s_cbranch_scc1 .LBB165_33
; %bb.1:
	s_clause 0x1
	s_load_b64 s[16:17], s[0:1], 0x0
	s_load_b128 s[4:7], s[0:1], 0x10
	s_bfe_u32 s3, ttmp6, 0x4000c
	s_and_b32 s14, ttmp6, 15
	s_add_co_i32 s3, s3, 1
	s_load_b128 s[8:11], s[0:1], 0x28
	s_mul_i32 s3, ttmp9, s3
	v_dual_mov_b32 v3, 0 :: v_dual_lshlrev_b32 v0, 1, v0
	s_add_co_i32 s14, s14, s3
	s_cmp_eq_u32 s2, 0
	s_wait_xcnt 0x0
	s_cselect_b32 s0, ttmp9, s14
	s_delay_alu instid0(SALU_CYCLE_1) | instskip(NEXT) | instid1(VALU_DEP_1)
	v_lshl_or_b32 v2, s0, 9, v0
	v_lshlrev_b64_e32 v[0:1], 1, v[2:3]
	s_wait_kmcnt 0x0
	s_and_b32 s1, s17, 0x7fff
	s_delay_alu instid0(SALU_CYCLE_1)
	s_cmp_lg_u32 s1, 0
	s_cselect_b32 s1, -1, 0
	s_add_co_i32 s2, s16, -1
	s_lshl_b32 s14, s17, 16
	s_ashr_i32 s3, s2, 31
	s_bitcmp1_b32 s16, 0
	v_cmp_eq_u64_e32 vcc_lo, s[2:3], v[2:3]
	v_cmp_gt_i64_e64 s0, s[2:3], v[2:3]
	s_cselect_b32 s15, -1, 0
	s_lshl_b64 s[2:3], s[6:7], 1
	s_lshl_b64 s[6:7], s[10:11], 1
	s_and_b32 s15, s15, vcc_lo
	s_branch .LBB165_5
.LBB165_2:                              ;   in Loop: Header=BB165_5 Depth=1
	s_or_b32 exec_lo, exec_lo, s11
	flat_store_d16_hi_b16 v[2:3], v5
.LBB165_3:                              ;   in Loop: Header=BB165_5 Depth=1
	s_wait_xcnt 0x0
	s_or_b32 exec_lo, exec_lo, s10
.LBB165_4:                              ;   in Loop: Header=BB165_5 Depth=1
	s_add_co_i32 s13, s13, 0x10000
	s_delay_alu instid0(SALU_CYCLE_1)
	s_cmp_lt_u32 s13, s12
	s_cbranch_scc0 .LBB165_33
.LBB165_5:                              ; =>This Inner Loop Header: Depth=1
	s_and_not1_b32 vcc_lo, exec_lo, s1
	s_cbranch_vccnz .LBB165_4
; %bb.6:                                ;   in Loop: Header=BB165_5 Depth=1
	s_load_b64 s[10:11], s[8:9], s13 offset:0x0 scale_offset
	s_load_b64 s[16:17], s[4:5], s13 offset:0x0 scale_offset
	s_wait_kmcnt 0x0
	s_add_nc_u64 s[10:11], s[10:11], s[6:7]
	s_add_nc_u64 s[16:17], s[16:17], s[2:3]
	v_add_nc_u64_e32 v[2:3], s[10:11], v[0:1]
	v_add_nc_u64_e32 v[4:5], s[16:17], v[0:1]
	s_and_saveexec_b32 s10, s0
	s_cbranch_execz .LBB165_24
; %bb.7:                                ;   in Loop: Header=BB165_5 Depth=1
	flat_load_u16 v7, v[4:5]
	flat_load_u16 v6, v[2:3]
	s_wait_loadcnt_dscnt 0x101
	v_lshlrev_b32_e32 v7, 16, v7
	s_delay_alu instid0(VALU_DEP_1) | instskip(NEXT) | instid1(VALU_DEP_1)
	v_mul_f32_e32 v7, s14, v7
	v_and_b32_e32 v8, 0x7f800000, v7
	s_delay_alu instid0(VALU_DEP_1) | instskip(SKIP_2) | instid1(SALU_CYCLE_1)
	v_cmp_ne_u32_e32 vcc_lo, 0x7f800000, v8
                                        ; implicit-def: $vgpr8
	s_wait_xcnt 0x0
	s_and_saveexec_b32 s11, vcc_lo
	s_xor_b32 s11, exec_lo, s11
; %bb.8:                                ;   in Loop: Header=BB165_5 Depth=1
	v_bfe_u32 v8, v7, 16, 1
	s_delay_alu instid0(VALU_DEP_1)
	v_add3_u32 v8, v7, v8, 0x7fff
                                        ; implicit-def: $vgpr7
; %bb.9:                                ;   in Loop: Header=BB165_5 Depth=1
	s_and_not1_saveexec_b32 s11, s11
; %bb.10:                               ;   in Loop: Header=BB165_5 Depth=1
	v_and_b32_e32 v8, 0xffff, v7
	v_or_b32_e32 v9, 0x10000, v7
	s_delay_alu instid0(VALU_DEP_2) | instskip(NEXT) | instid1(VALU_DEP_2)
	v_cmp_eq_u32_e32 vcc_lo, 0, v8
	v_cndmask_b32_e32 v8, v9, v7, vcc_lo
; %bb.11:                               ;   in Loop: Header=BB165_5 Depth=1
	s_or_b32 exec_lo, exec_lo, s11
	s_delay_alu instid0(VALU_DEP_1) | instskip(SKIP_2) | instid1(VALU_DEP_1)
	v_and_b32_e32 v7, 0xffff0000, v8
	s_wait_loadcnt_dscnt 0x0
	v_lshlrev_b32_e32 v6, 16, v6
	v_add_f32_e32 v6, v6, v7
	s_delay_alu instid0(VALU_DEP_1) | instskip(NEXT) | instid1(VALU_DEP_1)
	v_and_b32_e32 v7, 0x7f800000, v6
	v_cmp_ne_u32_e32 vcc_lo, 0x7f800000, v7
                                        ; implicit-def: $vgpr7
	s_and_saveexec_b32 s11, vcc_lo
	s_delay_alu instid0(SALU_CYCLE_1)
	s_xor_b32 s11, exec_lo, s11
; %bb.12:                               ;   in Loop: Header=BB165_5 Depth=1
	v_bfe_u32 v7, v6, 16, 1
	s_delay_alu instid0(VALU_DEP_1)
	v_add3_u32 v7, v6, v7, 0x7fff
                                        ; implicit-def: $vgpr6
; %bb.13:                               ;   in Loop: Header=BB165_5 Depth=1
	s_and_not1_saveexec_b32 s11, s11
; %bb.14:                               ;   in Loop: Header=BB165_5 Depth=1
	v_and_b32_e32 v7, 0xffff, v6
	v_or_b32_e32 v8, 0x10000, v6
	s_delay_alu instid0(VALU_DEP_2) | instskip(NEXT) | instid1(VALU_DEP_2)
	v_cmp_eq_u32_e32 vcc_lo, 0, v7
	v_cndmask_b32_e32 v7, v8, v6, vcc_lo
; %bb.15:                               ;   in Loop: Header=BB165_5 Depth=1
	s_or_b32 exec_lo, exec_lo, s11
	flat_store_d16_hi_b16 v[2:3], v7
	flat_load_u16 v7, v[4:5] offset:2
	flat_load_u16 v6, v[2:3] offset:2
	s_wait_loadcnt_dscnt 0x101
	v_lshlrev_b32_e32 v7, 16, v7
	s_delay_alu instid0(VALU_DEP_1) | instskip(NEXT) | instid1(VALU_DEP_1)
	v_mul_f32_e32 v7, s14, v7
	v_and_b32_e32 v8, 0x7f800000, v7
	s_delay_alu instid0(VALU_DEP_1) | instskip(SKIP_2) | instid1(SALU_CYCLE_1)
	v_cmp_ne_u32_e32 vcc_lo, 0x7f800000, v8
                                        ; implicit-def: $vgpr8
	s_wait_xcnt 0x0
	s_and_saveexec_b32 s11, vcc_lo
	s_xor_b32 s11, exec_lo, s11
; %bb.16:                               ;   in Loop: Header=BB165_5 Depth=1
	v_bfe_u32 v8, v7, 16, 1
	s_delay_alu instid0(VALU_DEP_1)
	v_add3_u32 v8, v7, v8, 0x7fff
                                        ; implicit-def: $vgpr7
; %bb.17:                               ;   in Loop: Header=BB165_5 Depth=1
	s_and_not1_saveexec_b32 s11, s11
; %bb.18:                               ;   in Loop: Header=BB165_5 Depth=1
	v_and_b32_e32 v8, 0xffff, v7
	v_or_b32_e32 v9, 0x10000, v7
	s_delay_alu instid0(VALU_DEP_2) | instskip(NEXT) | instid1(VALU_DEP_2)
	v_cmp_eq_u32_e32 vcc_lo, 0, v8
	v_cndmask_b32_e32 v8, v9, v7, vcc_lo
; %bb.19:                               ;   in Loop: Header=BB165_5 Depth=1
	s_or_b32 exec_lo, exec_lo, s11
	s_delay_alu instid0(VALU_DEP_1) | instskip(SKIP_2) | instid1(VALU_DEP_1)
	v_and_b32_e32 v7, 0xffff0000, v8
	s_wait_loadcnt_dscnt 0x0
	v_lshlrev_b32_e32 v6, 16, v6
	v_add_f32_e32 v6, v6, v7
	s_delay_alu instid0(VALU_DEP_1) | instskip(NEXT) | instid1(VALU_DEP_1)
	v_and_b32_e32 v7, 0x7f800000, v6
	v_cmp_ne_u32_e32 vcc_lo, 0x7f800000, v7
                                        ; implicit-def: $vgpr7
	s_and_saveexec_b32 s11, vcc_lo
	s_delay_alu instid0(SALU_CYCLE_1)
	s_xor_b32 s11, exec_lo, s11
; %bb.20:                               ;   in Loop: Header=BB165_5 Depth=1
	v_bfe_u32 v7, v6, 16, 1
	s_delay_alu instid0(VALU_DEP_1)
	v_add3_u32 v7, v6, v7, 0x7fff
                                        ; implicit-def: $vgpr6
; %bb.21:                               ;   in Loop: Header=BB165_5 Depth=1
	s_and_not1_saveexec_b32 s11, s11
; %bb.22:                               ;   in Loop: Header=BB165_5 Depth=1
	v_and_b32_e32 v7, 0xffff, v6
	v_or_b32_e32 v8, 0x10000, v6
	s_delay_alu instid0(VALU_DEP_2) | instskip(NEXT) | instid1(VALU_DEP_2)
	v_cmp_eq_u32_e32 vcc_lo, 0, v7
	v_cndmask_b32_e32 v7, v8, v6, vcc_lo
; %bb.23:                               ;   in Loop: Header=BB165_5 Depth=1
	s_or_b32 exec_lo, exec_lo, s11
	flat_store_d16_hi_b16 v[2:3], v7 offset:2
.LBB165_24:                             ;   in Loop: Header=BB165_5 Depth=1
	s_wait_xcnt 0x0
	s_or_b32 exec_lo, exec_lo, s10
	s_and_saveexec_b32 s10, s15
	s_cbranch_execz .LBB165_3
; %bb.25:                               ;   in Loop: Header=BB165_5 Depth=1
	flat_load_u16 v7, v[4:5]
	flat_load_u16 v6, v[2:3]
	s_wait_loadcnt_dscnt 0x101
	s_wait_xcnt 0x1
	v_lshlrev_b32_e32 v4, 16, v7
	s_delay_alu instid0(VALU_DEP_1) | instskip(NEXT) | instid1(VALU_DEP_1)
	v_mul_f32_e32 v4, s14, v4
	v_and_b32_e32 v5, 0x7f800000, v4
	s_delay_alu instid0(VALU_DEP_1) | instskip(SKIP_2) | instid1(SALU_CYCLE_1)
	v_cmp_ne_u32_e32 vcc_lo, 0x7f800000, v5
                                        ; implicit-def: $vgpr5
	s_wait_xcnt 0x0
	s_and_saveexec_b32 s11, vcc_lo
	s_xor_b32 s11, exec_lo, s11
; %bb.26:                               ;   in Loop: Header=BB165_5 Depth=1
	v_bfe_u32 v5, v4, 16, 1
	s_delay_alu instid0(VALU_DEP_1)
	v_add3_u32 v5, v4, v5, 0x7fff
                                        ; implicit-def: $vgpr4
; %bb.27:                               ;   in Loop: Header=BB165_5 Depth=1
	s_and_not1_saveexec_b32 s11, s11
; %bb.28:                               ;   in Loop: Header=BB165_5 Depth=1
	v_and_b32_e32 v5, 0xffff, v4
	v_or_b32_e32 v7, 0x10000, v4
	s_delay_alu instid0(VALU_DEP_2) | instskip(NEXT) | instid1(VALU_DEP_2)
	v_cmp_eq_u32_e32 vcc_lo, 0, v5
	v_cndmask_b32_e32 v5, v7, v4, vcc_lo
; %bb.29:                               ;   in Loop: Header=BB165_5 Depth=1
	s_or_b32 exec_lo, exec_lo, s11
	s_delay_alu instid0(VALU_DEP_1) | instskip(SKIP_2) | instid1(VALU_DEP_1)
	v_and_b32_e32 v4, 0xffff0000, v5
	s_wait_loadcnt_dscnt 0x0
	v_lshlrev_b32_e32 v5, 16, v6
	v_add_f32_e32 v4, v5, v4
	s_delay_alu instid0(VALU_DEP_1) | instskip(NEXT) | instid1(VALU_DEP_1)
	v_and_b32_e32 v5, 0x7f800000, v4
	v_cmp_ne_u32_e32 vcc_lo, 0x7f800000, v5
                                        ; implicit-def: $vgpr5
	s_and_saveexec_b32 s11, vcc_lo
	s_delay_alu instid0(SALU_CYCLE_1)
	s_xor_b32 s11, exec_lo, s11
; %bb.30:                               ;   in Loop: Header=BB165_5 Depth=1
	v_bfe_u32 v5, v4, 16, 1
	s_delay_alu instid0(VALU_DEP_1)
	v_add3_u32 v5, v4, v5, 0x7fff
                                        ; implicit-def: $vgpr4
; %bb.31:                               ;   in Loop: Header=BB165_5 Depth=1
	s_and_not1_saveexec_b32 s11, s11
	s_cbranch_execz .LBB165_2
; %bb.32:                               ;   in Loop: Header=BB165_5 Depth=1
	v_and_b32_e32 v5, 0xffff, v4
	v_or_b32_e32 v6, 0x10000, v4
	s_delay_alu instid0(VALU_DEP_2) | instskip(NEXT) | instid1(VALU_DEP_2)
	v_cmp_eq_u32_e32 vcc_lo, 0, v5
	v_cndmask_b32_e32 v5, v6, v4, vcc_lo
	s_branch .LBB165_2
.LBB165_33:
	s_endpgm
	.section	.rodata,"a",@progbits
	.p2align	6, 0x0
	.amdhsa_kernel _ZL22rocblas_saxpy_2_kernelILi256Ef16rocblas_bfloat16PKPKS0_PKPS0_EviT1_lT2_llT3_lli
		.amdhsa_group_segment_fixed_size 0
		.amdhsa_private_segment_fixed_size 0
		.amdhsa_kernarg_size 68
		.amdhsa_user_sgpr_count 2
		.amdhsa_user_sgpr_dispatch_ptr 0
		.amdhsa_user_sgpr_queue_ptr 0
		.amdhsa_user_sgpr_kernarg_segment_ptr 1
		.amdhsa_user_sgpr_dispatch_id 0
		.amdhsa_user_sgpr_kernarg_preload_length 0
		.amdhsa_user_sgpr_kernarg_preload_offset 0
		.amdhsa_user_sgpr_private_segment_size 0
		.amdhsa_wavefront_size32 1
		.amdhsa_uses_dynamic_stack 0
		.amdhsa_enable_private_segment 0
		.amdhsa_system_sgpr_workgroup_id_x 1
		.amdhsa_system_sgpr_workgroup_id_y 0
		.amdhsa_system_sgpr_workgroup_id_z 1
		.amdhsa_system_sgpr_workgroup_info 0
		.amdhsa_system_vgpr_workitem_id 0
		.amdhsa_next_free_vgpr 10
		.amdhsa_next_free_sgpr 18
		.amdhsa_named_barrier_count 0
		.amdhsa_reserve_vcc 1
		.amdhsa_float_round_mode_32 0
		.amdhsa_float_round_mode_16_64 0
		.amdhsa_float_denorm_mode_32 3
		.amdhsa_float_denorm_mode_16_64 3
		.amdhsa_fp16_overflow 0
		.amdhsa_memory_ordered 1
		.amdhsa_forward_progress 1
		.amdhsa_inst_pref_size 9
		.amdhsa_round_robin_scheduling 0
		.amdhsa_exception_fp_ieee_invalid_op 0
		.amdhsa_exception_fp_denorm_src 0
		.amdhsa_exception_fp_ieee_div_zero 0
		.amdhsa_exception_fp_ieee_overflow 0
		.amdhsa_exception_fp_ieee_underflow 0
		.amdhsa_exception_fp_ieee_inexact 0
		.amdhsa_exception_int_div_zero 0
	.end_amdhsa_kernel
	.section	.text._ZL22rocblas_saxpy_2_kernelILi256Ef16rocblas_bfloat16PKPKS0_PKPS0_EviT1_lT2_llT3_lli,"axG",@progbits,_ZL22rocblas_saxpy_2_kernelILi256Ef16rocblas_bfloat16PKPKS0_PKPS0_EviT1_lT2_llT3_lli,comdat
.Lfunc_end165:
	.size	_ZL22rocblas_saxpy_2_kernelILi256Ef16rocblas_bfloat16PKPKS0_PKPS0_EviT1_lT2_llT3_lli, .Lfunc_end165-_ZL22rocblas_saxpy_2_kernelILi256Ef16rocblas_bfloat16PKPKS0_PKPS0_EviT1_lT2_llT3_lli
                                        ; -- End function
	.set _ZL22rocblas_saxpy_2_kernelILi256Ef16rocblas_bfloat16PKPKS0_PKPS0_EviT1_lT2_llT3_lli.num_vgpr, 10
	.set _ZL22rocblas_saxpy_2_kernelILi256Ef16rocblas_bfloat16PKPKS0_PKPS0_EviT1_lT2_llT3_lli.num_agpr, 0
	.set _ZL22rocblas_saxpy_2_kernelILi256Ef16rocblas_bfloat16PKPKS0_PKPS0_EviT1_lT2_llT3_lli.numbered_sgpr, 18
	.set _ZL22rocblas_saxpy_2_kernelILi256Ef16rocblas_bfloat16PKPKS0_PKPS0_EviT1_lT2_llT3_lli.num_named_barrier, 0
	.set _ZL22rocblas_saxpy_2_kernelILi256Ef16rocblas_bfloat16PKPKS0_PKPS0_EviT1_lT2_llT3_lli.private_seg_size, 0
	.set _ZL22rocblas_saxpy_2_kernelILi256Ef16rocblas_bfloat16PKPKS0_PKPS0_EviT1_lT2_llT3_lli.uses_vcc, 1
	.set _ZL22rocblas_saxpy_2_kernelILi256Ef16rocblas_bfloat16PKPKS0_PKPS0_EviT1_lT2_llT3_lli.uses_flat_scratch, 0
	.set _ZL22rocblas_saxpy_2_kernelILi256Ef16rocblas_bfloat16PKPKS0_PKPS0_EviT1_lT2_llT3_lli.has_dyn_sized_stack, 0
	.set _ZL22rocblas_saxpy_2_kernelILi256Ef16rocblas_bfloat16PKPKS0_PKPS0_EviT1_lT2_llT3_lli.has_recursion, 0
	.set _ZL22rocblas_saxpy_2_kernelILi256Ef16rocblas_bfloat16PKPKS0_PKPS0_EviT1_lT2_llT3_lli.has_indirect_call, 0
	.section	.AMDGPU.csdata,"",@progbits
; Kernel info:
; codeLenInByte = 1116
; TotalNumSgprs: 20
; NumVgprs: 10
; ScratchSize: 0
; MemoryBound: 0
; FloatMode: 240
; IeeeMode: 1
; LDSByteSize: 0 bytes/workgroup (compile time only)
; SGPRBlocks: 0
; VGPRBlocks: 0
; NumSGPRsForWavesPerEU: 20
; NumVGPRsForWavesPerEU: 10
; NamedBarCnt: 0
; Occupancy: 16
; WaveLimiterHint : 1
; COMPUTE_PGM_RSRC2:SCRATCH_EN: 0
; COMPUTE_PGM_RSRC2:USER_SGPR: 2
; COMPUTE_PGM_RSRC2:TRAP_HANDLER: 0
; COMPUTE_PGM_RSRC2:TGID_X_EN: 1
; COMPUTE_PGM_RSRC2:TGID_Y_EN: 0
; COMPUTE_PGM_RSRC2:TGID_Z_EN: 1
; COMPUTE_PGM_RSRC2:TIDIG_COMP_CNT: 0
	.section	.text._ZL27rocblas_axpy_kernel_batchedIiLi128ELi8EfPK16rocblas_bfloat16PKS2_PKPS0_EviT3_lT4_lT_lT5_lSA_li,"axG",@progbits,_ZL27rocblas_axpy_kernel_batchedIiLi128ELi8EfPK16rocblas_bfloat16PKS2_PKPS0_EviT3_lT4_lT_lT5_lSA_li,comdat
	.globl	_ZL27rocblas_axpy_kernel_batchedIiLi128ELi8EfPK16rocblas_bfloat16PKS2_PKPS0_EviT3_lT4_lT_lT5_lSA_li ; -- Begin function _ZL27rocblas_axpy_kernel_batchedIiLi128ELi8EfPK16rocblas_bfloat16PKS2_PKPS0_EviT3_lT4_lT_lT5_lSA_li
	.p2align	8
	.type	_ZL27rocblas_axpy_kernel_batchedIiLi128ELi8EfPK16rocblas_bfloat16PKS2_PKPS0_EviT3_lT4_lT_lT5_lSA_li,@function
_ZL27rocblas_axpy_kernel_batchedIiLi128ELi8EfPK16rocblas_bfloat16PKS2_PKPS0_EviT3_lT4_lT_lT5_lSA_li: ; @_ZL27rocblas_axpy_kernel_batchedIiLi128ELi8EfPK16rocblas_bfloat16PKS2_PKPS0_EviT3_lT4_lT_lT5_lSA_li
; %bb.0:
	s_load_b32 s4, s[0:1], 0x0
	s_bfe_u32 s2, ttmp6, 0x4000c
	s_and_b32 s5, ttmp6, 15
	s_add_co_i32 s2, s2, 1
	s_getreg_b32 s3, hwreg(HW_REG_IB_STS2, 6, 4)
	s_mul_i32 s2, ttmp9, s2
	v_and_b32_e32 v1, 0x3ff, v0
	s_add_co_i32 s2, s5, s2
	v_mov_b32_e32 v5, 0
	s_wait_kmcnt 0x0
	s_ashr_i32 s5, s4, 31
	s_cmp_eq_u32 s3, 0
	s_cselect_b32 s2, ttmp9, s2
	s_delay_alu instid0(SALU_CYCLE_1) | instskip(SKIP_1) | instid1(VALU_DEP_1)
	v_lshl_add_u32 v4, s2, 7, v1
	s_mov_b32 s2, exec_lo
	v_cmpx_gt_i64_e64 s[4:5], v[4:5]
	s_cbranch_execz .LBB166_47
; %bb.1:
	s_load_b32 s2, s[0:1], 0x58
	s_bfe_u32 s4, ttmp6, 0x40014
	v_lshrrev_b32_e32 v0, 8, v0
	s_lshr_b32 s5, ttmp7, 16
	s_add_co_i32 s4, s4, 1
	s_bfe_u32 s6, ttmp6, 0x40008
	s_mul_i32 s4, s5, s4
	v_and_b32_e32 v0, 0xffc, v0
	s_add_co_i32 s6, s6, s4
	s_cmp_eq_u32 s3, 0
	s_cselect_b32 s3, s5, s6
	s_delay_alu instid0(VALU_DEP_1) | instid1(SALU_CYCLE_1)
	v_lshl_add_u32 v0, s3, 5, v0
	s_wait_kmcnt 0x0
	s_delay_alu instid0(VALU_DEP_1)
	v_cmp_gt_u32_e32 vcc_lo, s2, v0
	s_and_b32 exec_lo, exec_lo, vcc_lo
	s_cbranch_execz .LBB166_47
; %bb.2:
	s_clause 0x3
	s_load_b32 s4, s[0:1], 0x28
	s_load_b32 s6, s[0:1], 0x48
	s_load_b128 s[12:15], s[0:1], 0x38
	s_load_b32 s3, s[0:1], 0x68
	v_mov_b32_e32 v1, 0
	s_wait_kmcnt 0x0
	s_ashr_i32 s5, s4, 31
	s_ashr_i32 s7, s6, 31
	v_mul_u64_e32 v[2:3], s[4:5], v[4:5]
	v_mul_u64_e32 v[4:5], s[6:7], v[4:5]
	s_load_b256 s[4:11], s[0:1], 0x8
	s_wait_xcnt 0x0
	s_lshl_b32 s0, s3, 5
	s_mov_b32 s1, 0
	s_branch .LBB166_5
.LBB166_3:                              ;   in Loop: Header=BB166_5 Depth=1
	s_or_b32 exec_lo, exec_lo, s16
	flat_store_d16_hi_b16 v[6:7], v9
.LBB166_4:                              ;   in Loop: Header=BB166_5 Depth=1
	s_wait_xcnt 0x0
	s_or_b32 exec_lo, exec_lo, s3
	v_add_nc_u32_e32 v0, s0, v0
	s_delay_alu instid0(VALU_DEP_1) | instskip(SKIP_1) | instid1(SALU_CYCLE_1)
	v_cmp_le_u32_e32 vcc_lo, s2, v0
	s_or_b32 s1, vcc_lo, s1
	s_and_not1_b32 exec_lo, exec_lo, s1
	s_cbranch_execz .LBB166_47
.LBB166_5:                              ; =>This Inner Loop Header: Depth=1
	s_wait_kmcnt 0x0
	v_mul_u64_e32 v[6:7], s[6:7], v[0:1]
	s_mov_b32 s3, exec_lo
	s_delay_alu instid0(VALU_DEP_1) | instskip(SKIP_4) | instid1(VALU_DEP_1)
	v_lshl_add_u64 v[6:7], v[6:7], 1, s[4:5]
	global_load_u16 v9, v[6:7], off
	s_wait_loadcnt 0x0
	s_wait_xcnt 0x0
	v_and_b32_e32 v6, 0x7fff, v9
	v_cmpx_ne_u16_e32 0, v6
	s_cbranch_execz .LBB166_15
; %bb.6:                                ;   in Loop: Header=BB166_5 Depth=1
	v_lshlrev_b64_e32 v[6:7], 3, v[0:1]
	v_lshlrev_b32_e32 v9, 16, v9
	s_delay_alu instid0(VALU_DEP_2)
	v_add_nc_u64_e32 v[10:11], s[8:9], v[6:7]
	v_add_nc_u64_e32 v[6:7], s[12:13], v[6:7]
	global_load_b64 v[10:11], v[10:11], off
	global_load_b64 v[6:7], v[6:7], off
	s_wait_loadcnt 0x1
	s_wait_xcnt 0x1
	v_lshl_add_u64 v[10:11], s[10:11], 1, v[10:11]
	s_wait_loadcnt 0x0
	s_wait_xcnt 0x0
	v_lshl_add_u64 v[6:7], s[14:15], 1, v[6:7]
	s_delay_alu instid0(VALU_DEP_2) | instskip(NEXT) | instid1(VALU_DEP_2)
	v_lshl_add_u64 v[10:11], v[2:3], 1, v[10:11]
	v_lshl_add_u64 v[6:7], v[4:5], 1, v[6:7]
	flat_load_u16 v10, v[10:11]
	flat_load_u16 v8, v[6:7]
	s_wait_loadcnt_dscnt 0x101
	s_wait_xcnt 0x1
	v_lshlrev_b32_e32 v10, 16, v10
	s_delay_alu instid0(VALU_DEP_1) | instskip(NEXT) | instid1(VALU_DEP_1)
	v_mul_f32_e32 v9, v10, v9
	v_and_b32_e32 v10, 0x7f800000, v9
	s_delay_alu instid0(VALU_DEP_1) | instskip(SKIP_2) | instid1(SALU_CYCLE_1)
	v_cmp_ne_u32_e32 vcc_lo, 0x7f800000, v10
                                        ; implicit-def: $vgpr10
	s_wait_xcnt 0x0
	s_and_saveexec_b32 s16, vcc_lo
	s_xor_b32 s16, exec_lo, s16
; %bb.7:                                ;   in Loop: Header=BB166_5 Depth=1
	v_bfe_u32 v10, v9, 16, 1
	s_delay_alu instid0(VALU_DEP_1)
	v_add3_u32 v10, v9, v10, 0x7fff
                                        ; implicit-def: $vgpr9
; %bb.8:                                ;   in Loop: Header=BB166_5 Depth=1
	s_and_not1_saveexec_b32 s16, s16
; %bb.9:                                ;   in Loop: Header=BB166_5 Depth=1
	v_and_b32_e32 v10, 0xffff, v9
	v_or_b32_e32 v11, 0x10000, v9
	s_delay_alu instid0(VALU_DEP_2) | instskip(NEXT) | instid1(VALU_DEP_2)
	v_cmp_eq_u32_e32 vcc_lo, 0, v10
	v_cndmask_b32_e32 v10, v11, v9, vcc_lo
; %bb.10:                               ;   in Loop: Header=BB166_5 Depth=1
	s_or_b32 exec_lo, exec_lo, s16
	s_delay_alu instid0(VALU_DEP_1) | instskip(SKIP_2) | instid1(VALU_DEP_1)
	v_and_b32_e32 v9, 0xffff0000, v10
	s_wait_loadcnt_dscnt 0x0
	v_lshlrev_b32_e32 v8, 16, v8
	v_add_f32_e32 v8, v8, v9
	s_delay_alu instid0(VALU_DEP_1) | instskip(NEXT) | instid1(VALU_DEP_1)
	v_and_b32_e32 v9, 0x7f800000, v8
	v_cmp_ne_u32_e32 vcc_lo, 0x7f800000, v9
                                        ; implicit-def: $vgpr9
	s_and_saveexec_b32 s16, vcc_lo
	s_delay_alu instid0(SALU_CYCLE_1)
	s_xor_b32 s16, exec_lo, s16
; %bb.11:                               ;   in Loop: Header=BB166_5 Depth=1
	v_bfe_u32 v9, v8, 16, 1
	s_delay_alu instid0(VALU_DEP_1)
	v_add3_u32 v9, v8, v9, 0x7fff
                                        ; implicit-def: $vgpr8
; %bb.12:                               ;   in Loop: Header=BB166_5 Depth=1
	s_and_not1_saveexec_b32 s16, s16
; %bb.13:                               ;   in Loop: Header=BB166_5 Depth=1
	v_and_b32_e32 v9, 0xffff, v8
	v_or_b32_e32 v10, 0x10000, v8
	s_delay_alu instid0(VALU_DEP_2) | instskip(NEXT) | instid1(VALU_DEP_2)
	v_cmp_eq_u32_e32 vcc_lo, 0, v9
	v_cndmask_b32_e32 v9, v10, v8, vcc_lo
; %bb.14:                               ;   in Loop: Header=BB166_5 Depth=1
	s_or_b32 exec_lo, exec_lo, s16
	flat_store_d16_hi_b16 v[6:7], v9
.LBB166_15:                             ;   in Loop: Header=BB166_5 Depth=1
	s_wait_xcnt 0x0
	s_or_b32 exec_lo, exec_lo, s3
	v_add_nc_u32_e32 v6, 1, v0
	s_mov_b32 s3, exec_lo
	s_delay_alu instid0(VALU_DEP_1)
	v_cmpx_gt_u32_e64 s2, v6
	s_cbranch_execz .LBB166_26
; %bb.16:                               ;   in Loop: Header=BB166_5 Depth=1
	v_mov_b32_e32 v7, v1
	s_delay_alu instid0(VALU_DEP_1) | instskip(NEXT) | instid1(VALU_DEP_1)
	v_mul_u64_e32 v[6:7], s[6:7], v[6:7]
	v_lshl_add_u64 v[6:7], v[6:7], 1, s[4:5]
	global_load_u16 v9, v[6:7], off
	s_wait_loadcnt 0x0
	v_and_b32_e32 v6, 0x7fff, v9
	s_delay_alu instid0(VALU_DEP_1)
	v_cmp_ne_u16_e32 vcc_lo, 0, v6
	s_and_b32 exec_lo, exec_lo, vcc_lo
	s_cbranch_execz .LBB166_26
; %bb.17:                               ;   in Loop: Header=BB166_5 Depth=1
	v_lshlrev_b64_e32 v[6:7], 3, v[0:1]
	v_lshlrev_b32_e32 v9, 16, v9
	s_delay_alu instid0(VALU_DEP_2)
	v_add_nc_u64_e32 v[10:11], s[8:9], v[6:7]
	v_add_nc_u64_e32 v[6:7], s[12:13], v[6:7]
	global_load_b64 v[10:11], v[10:11], off offset:8
	global_load_b64 v[6:7], v[6:7], off offset:8
	s_wait_loadcnt 0x1
	s_wait_xcnt 0x1
	v_lshl_add_u64 v[10:11], s[10:11], 1, v[10:11]
	s_wait_loadcnt 0x0
	v_lshl_add_u64 v[6:7], s[14:15], 1, v[6:7]
	s_delay_alu instid0(VALU_DEP_2) | instskip(NEXT) | instid1(VALU_DEP_2)
	v_lshl_add_u64 v[10:11], v[2:3], 1, v[10:11]
	v_lshl_add_u64 v[6:7], v[4:5], 1, v[6:7]
	flat_load_u16 v10, v[10:11]
	flat_load_u16 v8, v[6:7]
	s_wait_loadcnt_dscnt 0x101
	s_wait_xcnt 0x1
	v_lshlrev_b32_e32 v10, 16, v10
	s_delay_alu instid0(VALU_DEP_1) | instskip(NEXT) | instid1(VALU_DEP_1)
	v_mul_f32_e32 v9, v10, v9
	v_and_b32_e32 v10, 0x7f800000, v9
	s_delay_alu instid0(VALU_DEP_1) | instskip(SKIP_2) | instid1(SALU_CYCLE_1)
	v_cmp_ne_u32_e32 vcc_lo, 0x7f800000, v10
                                        ; implicit-def: $vgpr10
	s_wait_xcnt 0x0
	s_and_saveexec_b32 s16, vcc_lo
	s_xor_b32 s16, exec_lo, s16
; %bb.18:                               ;   in Loop: Header=BB166_5 Depth=1
	v_bfe_u32 v10, v9, 16, 1
	s_delay_alu instid0(VALU_DEP_1)
	v_add3_u32 v10, v9, v10, 0x7fff
                                        ; implicit-def: $vgpr9
; %bb.19:                               ;   in Loop: Header=BB166_5 Depth=1
	s_and_not1_saveexec_b32 s16, s16
; %bb.20:                               ;   in Loop: Header=BB166_5 Depth=1
	v_and_b32_e32 v10, 0xffff, v9
	v_or_b32_e32 v11, 0x10000, v9
	s_delay_alu instid0(VALU_DEP_2) | instskip(NEXT) | instid1(VALU_DEP_2)
	v_cmp_eq_u32_e32 vcc_lo, 0, v10
	v_cndmask_b32_e32 v10, v11, v9, vcc_lo
; %bb.21:                               ;   in Loop: Header=BB166_5 Depth=1
	s_or_b32 exec_lo, exec_lo, s16
	s_delay_alu instid0(VALU_DEP_1) | instskip(SKIP_2) | instid1(VALU_DEP_1)
	v_and_b32_e32 v9, 0xffff0000, v10
	s_wait_loadcnt_dscnt 0x0
	v_lshlrev_b32_e32 v8, 16, v8
	v_add_f32_e32 v8, v8, v9
	s_delay_alu instid0(VALU_DEP_1) | instskip(NEXT) | instid1(VALU_DEP_1)
	v_and_b32_e32 v9, 0x7f800000, v8
	v_cmp_ne_u32_e32 vcc_lo, 0x7f800000, v9
                                        ; implicit-def: $vgpr9
	s_and_saveexec_b32 s16, vcc_lo
	s_delay_alu instid0(SALU_CYCLE_1)
	s_xor_b32 s16, exec_lo, s16
; %bb.22:                               ;   in Loop: Header=BB166_5 Depth=1
	v_bfe_u32 v9, v8, 16, 1
	s_delay_alu instid0(VALU_DEP_1)
	v_add3_u32 v9, v8, v9, 0x7fff
                                        ; implicit-def: $vgpr8
; %bb.23:                               ;   in Loop: Header=BB166_5 Depth=1
	s_and_not1_saveexec_b32 s16, s16
; %bb.24:                               ;   in Loop: Header=BB166_5 Depth=1
	v_and_b32_e32 v9, 0xffff, v8
	v_or_b32_e32 v10, 0x10000, v8
	s_delay_alu instid0(VALU_DEP_2) | instskip(NEXT) | instid1(VALU_DEP_2)
	v_cmp_eq_u32_e32 vcc_lo, 0, v9
	v_cndmask_b32_e32 v9, v10, v8, vcc_lo
; %bb.25:                               ;   in Loop: Header=BB166_5 Depth=1
	s_or_b32 exec_lo, exec_lo, s16
	flat_store_d16_hi_b16 v[6:7], v9
.LBB166_26:                             ;   in Loop: Header=BB166_5 Depth=1
	s_wait_xcnt 0x0
	s_or_b32 exec_lo, exec_lo, s3
	v_add_nc_u32_e32 v6, 2, v0
	s_mov_b32 s3, exec_lo
	s_delay_alu instid0(VALU_DEP_1)
	v_cmpx_gt_u32_e64 s2, v6
	s_cbranch_execz .LBB166_37
; %bb.27:                               ;   in Loop: Header=BB166_5 Depth=1
	v_mov_b32_e32 v7, v1
	s_delay_alu instid0(VALU_DEP_1) | instskip(NEXT) | instid1(VALU_DEP_1)
	v_mul_u64_e32 v[6:7], s[6:7], v[6:7]
	v_lshl_add_u64 v[6:7], v[6:7], 1, s[4:5]
	global_load_u16 v9, v[6:7], off
	s_wait_loadcnt 0x0
	v_and_b32_e32 v6, 0x7fff, v9
	s_delay_alu instid0(VALU_DEP_1)
	v_cmp_ne_u16_e32 vcc_lo, 0, v6
	s_and_b32 exec_lo, exec_lo, vcc_lo
	s_cbranch_execz .LBB166_37
; %bb.28:                               ;   in Loop: Header=BB166_5 Depth=1
	v_lshlrev_b64_e32 v[6:7], 3, v[0:1]
	v_lshlrev_b32_e32 v9, 16, v9
	s_delay_alu instid0(VALU_DEP_2)
	v_add_nc_u64_e32 v[10:11], s[8:9], v[6:7]
	v_add_nc_u64_e32 v[6:7], s[12:13], v[6:7]
	global_load_b64 v[10:11], v[10:11], off offset:16
	global_load_b64 v[6:7], v[6:7], off offset:16
	s_wait_loadcnt 0x1
	s_wait_xcnt 0x1
	v_lshl_add_u64 v[10:11], s[10:11], 1, v[10:11]
	s_wait_loadcnt 0x0
	v_lshl_add_u64 v[6:7], s[14:15], 1, v[6:7]
	s_delay_alu instid0(VALU_DEP_2) | instskip(NEXT) | instid1(VALU_DEP_2)
	v_lshl_add_u64 v[10:11], v[2:3], 1, v[10:11]
	v_lshl_add_u64 v[6:7], v[4:5], 1, v[6:7]
	flat_load_u16 v10, v[10:11]
	flat_load_u16 v8, v[6:7]
	s_wait_loadcnt_dscnt 0x101
	s_wait_xcnt 0x1
	v_lshlrev_b32_e32 v10, 16, v10
	s_delay_alu instid0(VALU_DEP_1) | instskip(NEXT) | instid1(VALU_DEP_1)
	v_mul_f32_e32 v9, v10, v9
	v_and_b32_e32 v10, 0x7f800000, v9
	s_delay_alu instid0(VALU_DEP_1) | instskip(SKIP_2) | instid1(SALU_CYCLE_1)
	v_cmp_ne_u32_e32 vcc_lo, 0x7f800000, v10
                                        ; implicit-def: $vgpr10
	s_wait_xcnt 0x0
	s_and_saveexec_b32 s16, vcc_lo
	s_xor_b32 s16, exec_lo, s16
; %bb.29:                               ;   in Loop: Header=BB166_5 Depth=1
	v_bfe_u32 v10, v9, 16, 1
	s_delay_alu instid0(VALU_DEP_1)
	v_add3_u32 v10, v9, v10, 0x7fff
                                        ; implicit-def: $vgpr9
; %bb.30:                               ;   in Loop: Header=BB166_5 Depth=1
	s_and_not1_saveexec_b32 s16, s16
; %bb.31:                               ;   in Loop: Header=BB166_5 Depth=1
	v_and_b32_e32 v10, 0xffff, v9
	v_or_b32_e32 v11, 0x10000, v9
	s_delay_alu instid0(VALU_DEP_2) | instskip(NEXT) | instid1(VALU_DEP_2)
	v_cmp_eq_u32_e32 vcc_lo, 0, v10
	v_cndmask_b32_e32 v10, v11, v9, vcc_lo
; %bb.32:                               ;   in Loop: Header=BB166_5 Depth=1
	s_or_b32 exec_lo, exec_lo, s16
	s_delay_alu instid0(VALU_DEP_1) | instskip(SKIP_2) | instid1(VALU_DEP_1)
	v_and_b32_e32 v9, 0xffff0000, v10
	s_wait_loadcnt_dscnt 0x0
	v_lshlrev_b32_e32 v8, 16, v8
	v_add_f32_e32 v8, v8, v9
	s_delay_alu instid0(VALU_DEP_1) | instskip(NEXT) | instid1(VALU_DEP_1)
	v_and_b32_e32 v9, 0x7f800000, v8
	v_cmp_ne_u32_e32 vcc_lo, 0x7f800000, v9
                                        ; implicit-def: $vgpr9
	s_and_saveexec_b32 s16, vcc_lo
	s_delay_alu instid0(SALU_CYCLE_1)
	s_xor_b32 s16, exec_lo, s16
; %bb.33:                               ;   in Loop: Header=BB166_5 Depth=1
	v_bfe_u32 v9, v8, 16, 1
	s_delay_alu instid0(VALU_DEP_1)
	v_add3_u32 v9, v8, v9, 0x7fff
                                        ; implicit-def: $vgpr8
; %bb.34:                               ;   in Loop: Header=BB166_5 Depth=1
	s_and_not1_saveexec_b32 s16, s16
; %bb.35:                               ;   in Loop: Header=BB166_5 Depth=1
	v_and_b32_e32 v9, 0xffff, v8
	v_or_b32_e32 v10, 0x10000, v8
	s_delay_alu instid0(VALU_DEP_2) | instskip(NEXT) | instid1(VALU_DEP_2)
	v_cmp_eq_u32_e32 vcc_lo, 0, v9
	v_cndmask_b32_e32 v9, v10, v8, vcc_lo
; %bb.36:                               ;   in Loop: Header=BB166_5 Depth=1
	s_or_b32 exec_lo, exec_lo, s16
	flat_store_d16_hi_b16 v[6:7], v9
.LBB166_37:                             ;   in Loop: Header=BB166_5 Depth=1
	s_wait_xcnt 0x0
	s_or_b32 exec_lo, exec_lo, s3
	v_add_nc_u32_e32 v6, 3, v0
	s_mov_b32 s3, exec_lo
	s_delay_alu instid0(VALU_DEP_1)
	v_cmpx_gt_u32_e64 s2, v6
	s_cbranch_execz .LBB166_4
; %bb.38:                               ;   in Loop: Header=BB166_5 Depth=1
	v_mov_b32_e32 v7, v1
	s_delay_alu instid0(VALU_DEP_1) | instskip(NEXT) | instid1(VALU_DEP_1)
	v_mul_u64_e32 v[6:7], s[6:7], v[6:7]
	v_lshl_add_u64 v[6:7], v[6:7], 1, s[4:5]
	global_load_u16 v9, v[6:7], off
	s_wait_loadcnt 0x0
	v_and_b32_e32 v6, 0x7fff, v9
	s_delay_alu instid0(VALU_DEP_1)
	v_cmp_ne_u16_e32 vcc_lo, 0, v6
	s_and_b32 exec_lo, exec_lo, vcc_lo
	s_cbranch_execz .LBB166_4
; %bb.39:                               ;   in Loop: Header=BB166_5 Depth=1
	v_lshlrev_b64_e32 v[6:7], 3, v[0:1]
	v_lshlrev_b32_e32 v9, 16, v9
	s_delay_alu instid0(VALU_DEP_2)
	v_add_nc_u64_e32 v[10:11], s[8:9], v[6:7]
	v_add_nc_u64_e32 v[6:7], s[12:13], v[6:7]
	global_load_b64 v[10:11], v[10:11], off offset:24
	global_load_b64 v[6:7], v[6:7], off offset:24
	s_wait_loadcnt 0x1
	s_wait_xcnt 0x1
	v_lshl_add_u64 v[10:11], s[10:11], 1, v[10:11]
	s_wait_loadcnt 0x0
	v_lshl_add_u64 v[6:7], s[14:15], 1, v[6:7]
	s_delay_alu instid0(VALU_DEP_2) | instskip(NEXT) | instid1(VALU_DEP_2)
	v_lshl_add_u64 v[10:11], v[2:3], 1, v[10:11]
	v_lshl_add_u64 v[6:7], v[4:5], 1, v[6:7]
	flat_load_u16 v10, v[10:11]
	flat_load_u16 v8, v[6:7]
	s_wait_loadcnt_dscnt 0x101
	s_wait_xcnt 0x1
	v_lshlrev_b32_e32 v10, 16, v10
	s_delay_alu instid0(VALU_DEP_1) | instskip(NEXT) | instid1(VALU_DEP_1)
	v_mul_f32_e32 v9, v10, v9
	v_and_b32_e32 v10, 0x7f800000, v9
	s_delay_alu instid0(VALU_DEP_1) | instskip(SKIP_2) | instid1(SALU_CYCLE_1)
	v_cmp_ne_u32_e32 vcc_lo, 0x7f800000, v10
                                        ; implicit-def: $vgpr10
	s_wait_xcnt 0x0
	s_and_saveexec_b32 s16, vcc_lo
	s_xor_b32 s16, exec_lo, s16
; %bb.40:                               ;   in Loop: Header=BB166_5 Depth=1
	v_bfe_u32 v10, v9, 16, 1
	s_delay_alu instid0(VALU_DEP_1)
	v_add3_u32 v10, v9, v10, 0x7fff
                                        ; implicit-def: $vgpr9
; %bb.41:                               ;   in Loop: Header=BB166_5 Depth=1
	s_and_not1_saveexec_b32 s16, s16
; %bb.42:                               ;   in Loop: Header=BB166_5 Depth=1
	v_and_b32_e32 v10, 0xffff, v9
	v_or_b32_e32 v11, 0x10000, v9
	s_delay_alu instid0(VALU_DEP_2) | instskip(NEXT) | instid1(VALU_DEP_2)
	v_cmp_eq_u32_e32 vcc_lo, 0, v10
	v_cndmask_b32_e32 v10, v11, v9, vcc_lo
; %bb.43:                               ;   in Loop: Header=BB166_5 Depth=1
	s_or_b32 exec_lo, exec_lo, s16
	s_delay_alu instid0(VALU_DEP_1) | instskip(SKIP_2) | instid1(VALU_DEP_1)
	v_and_b32_e32 v9, 0xffff0000, v10
	s_wait_loadcnt_dscnt 0x0
	v_lshlrev_b32_e32 v8, 16, v8
	v_add_f32_e32 v8, v8, v9
	s_delay_alu instid0(VALU_DEP_1) | instskip(NEXT) | instid1(VALU_DEP_1)
	v_and_b32_e32 v9, 0x7f800000, v8
	v_cmp_ne_u32_e32 vcc_lo, 0x7f800000, v9
                                        ; implicit-def: $vgpr9
	s_and_saveexec_b32 s16, vcc_lo
	s_delay_alu instid0(SALU_CYCLE_1)
	s_xor_b32 s16, exec_lo, s16
; %bb.44:                               ;   in Loop: Header=BB166_5 Depth=1
	v_bfe_u32 v9, v8, 16, 1
	s_delay_alu instid0(VALU_DEP_1)
	v_add3_u32 v9, v8, v9, 0x7fff
                                        ; implicit-def: $vgpr8
; %bb.45:                               ;   in Loop: Header=BB166_5 Depth=1
	s_and_not1_saveexec_b32 s16, s16
	s_cbranch_execz .LBB166_3
; %bb.46:                               ;   in Loop: Header=BB166_5 Depth=1
	v_and_b32_e32 v9, 0xffff, v8
	v_or_b32_e32 v10, 0x10000, v8
	s_delay_alu instid0(VALU_DEP_2) | instskip(NEXT) | instid1(VALU_DEP_2)
	v_cmp_eq_u32_e32 vcc_lo, 0, v9
	v_cndmask_b32_e32 v9, v10, v8, vcc_lo
	s_branch .LBB166_3
.LBB166_47:
	s_endpgm
	.section	.rodata,"a",@progbits
	.p2align	6, 0x0
	.amdhsa_kernel _ZL27rocblas_axpy_kernel_batchedIiLi128ELi8EfPK16rocblas_bfloat16PKS2_PKPS0_EviT3_lT4_lT_lT5_lSA_li
		.amdhsa_group_segment_fixed_size 0
		.amdhsa_private_segment_fixed_size 0
		.amdhsa_kernarg_size 352
		.amdhsa_user_sgpr_count 2
		.amdhsa_user_sgpr_dispatch_ptr 0
		.amdhsa_user_sgpr_queue_ptr 0
		.amdhsa_user_sgpr_kernarg_segment_ptr 1
		.amdhsa_user_sgpr_dispatch_id 0
		.amdhsa_user_sgpr_kernarg_preload_length 0
		.amdhsa_user_sgpr_kernarg_preload_offset 0
		.amdhsa_user_sgpr_private_segment_size 0
		.amdhsa_wavefront_size32 1
		.amdhsa_uses_dynamic_stack 0
		.amdhsa_enable_private_segment 0
		.amdhsa_system_sgpr_workgroup_id_x 1
		.amdhsa_system_sgpr_workgroup_id_y 0
		.amdhsa_system_sgpr_workgroup_id_z 1
		.amdhsa_system_sgpr_workgroup_info 0
		.amdhsa_system_vgpr_workitem_id 1
		.amdhsa_next_free_vgpr 12
		.amdhsa_next_free_sgpr 17
		.amdhsa_named_barrier_count 0
		.amdhsa_reserve_vcc 1
		.amdhsa_float_round_mode_32 0
		.amdhsa_float_round_mode_16_64 0
		.amdhsa_float_denorm_mode_32 3
		.amdhsa_float_denorm_mode_16_64 3
		.amdhsa_fp16_overflow 0
		.amdhsa_memory_ordered 1
		.amdhsa_forward_progress 1
		.amdhsa_inst_pref_size 17
		.amdhsa_round_robin_scheduling 0
		.amdhsa_exception_fp_ieee_invalid_op 0
		.amdhsa_exception_fp_denorm_src 0
		.amdhsa_exception_fp_ieee_div_zero 0
		.amdhsa_exception_fp_ieee_overflow 0
		.amdhsa_exception_fp_ieee_underflow 0
		.amdhsa_exception_fp_ieee_inexact 0
		.amdhsa_exception_int_div_zero 0
	.end_amdhsa_kernel
	.section	.text._ZL27rocblas_axpy_kernel_batchedIiLi128ELi8EfPK16rocblas_bfloat16PKS2_PKPS0_EviT3_lT4_lT_lT5_lSA_li,"axG",@progbits,_ZL27rocblas_axpy_kernel_batchedIiLi128ELi8EfPK16rocblas_bfloat16PKS2_PKPS0_EviT3_lT4_lT_lT5_lSA_li,comdat
.Lfunc_end166:
	.size	_ZL27rocblas_axpy_kernel_batchedIiLi128ELi8EfPK16rocblas_bfloat16PKS2_PKPS0_EviT3_lT4_lT_lT5_lSA_li, .Lfunc_end166-_ZL27rocblas_axpy_kernel_batchedIiLi128ELi8EfPK16rocblas_bfloat16PKS2_PKPS0_EviT3_lT4_lT_lT5_lSA_li
                                        ; -- End function
	.set _ZL27rocblas_axpy_kernel_batchedIiLi128ELi8EfPK16rocblas_bfloat16PKS2_PKPS0_EviT3_lT4_lT_lT5_lSA_li.num_vgpr, 12
	.set _ZL27rocblas_axpy_kernel_batchedIiLi128ELi8EfPK16rocblas_bfloat16PKS2_PKPS0_EviT3_lT4_lT_lT5_lSA_li.num_agpr, 0
	.set _ZL27rocblas_axpy_kernel_batchedIiLi128ELi8EfPK16rocblas_bfloat16PKS2_PKPS0_EviT3_lT4_lT_lT5_lSA_li.numbered_sgpr, 17
	.set _ZL27rocblas_axpy_kernel_batchedIiLi128ELi8EfPK16rocblas_bfloat16PKS2_PKPS0_EviT3_lT4_lT_lT5_lSA_li.num_named_barrier, 0
	.set _ZL27rocblas_axpy_kernel_batchedIiLi128ELi8EfPK16rocblas_bfloat16PKS2_PKPS0_EviT3_lT4_lT_lT5_lSA_li.private_seg_size, 0
	.set _ZL27rocblas_axpy_kernel_batchedIiLi128ELi8EfPK16rocblas_bfloat16PKS2_PKPS0_EviT3_lT4_lT_lT5_lSA_li.uses_vcc, 1
	.set _ZL27rocblas_axpy_kernel_batchedIiLi128ELi8EfPK16rocblas_bfloat16PKS2_PKPS0_EviT3_lT4_lT_lT5_lSA_li.uses_flat_scratch, 0
	.set _ZL27rocblas_axpy_kernel_batchedIiLi128ELi8EfPK16rocblas_bfloat16PKS2_PKPS0_EviT3_lT4_lT_lT5_lSA_li.has_dyn_sized_stack, 0
	.set _ZL27rocblas_axpy_kernel_batchedIiLi128ELi8EfPK16rocblas_bfloat16PKS2_PKPS0_EviT3_lT4_lT_lT5_lSA_li.has_recursion, 0
	.set _ZL27rocblas_axpy_kernel_batchedIiLi128ELi8EfPK16rocblas_bfloat16PKS2_PKPS0_EviT3_lT4_lT_lT5_lSA_li.has_indirect_call, 0
	.section	.AMDGPU.csdata,"",@progbits
; Kernel info:
; codeLenInByte = 2076
; TotalNumSgprs: 19
; NumVgprs: 12
; ScratchSize: 0
; MemoryBound: 0
; FloatMode: 240
; IeeeMode: 1
; LDSByteSize: 0 bytes/workgroup (compile time only)
; SGPRBlocks: 0
; VGPRBlocks: 0
; NumSGPRsForWavesPerEU: 19
; NumVGPRsForWavesPerEU: 12
; NamedBarCnt: 0
; Occupancy: 16
; WaveLimiterHint : 1
; COMPUTE_PGM_RSRC2:SCRATCH_EN: 0
; COMPUTE_PGM_RSRC2:USER_SGPR: 2
; COMPUTE_PGM_RSRC2:TRAP_HANDLER: 0
; COMPUTE_PGM_RSRC2:TGID_X_EN: 1
; COMPUTE_PGM_RSRC2:TGID_Y_EN: 0
; COMPUTE_PGM_RSRC2:TGID_Z_EN: 1
; COMPUTE_PGM_RSRC2:TIDIG_COMP_CNT: 1
	.section	.text._ZL27rocblas_axpy_kernel_batchedIiLi128ELi8Ef16rocblas_bfloat16PKPKS0_PKPS0_EviT3_lT4_lT_lT5_lSA_li,"axG",@progbits,_ZL27rocblas_axpy_kernel_batchedIiLi128ELi8Ef16rocblas_bfloat16PKPKS0_PKPS0_EviT3_lT4_lT_lT5_lSA_li,comdat
	.globl	_ZL27rocblas_axpy_kernel_batchedIiLi128ELi8Ef16rocblas_bfloat16PKPKS0_PKPS0_EviT3_lT4_lT_lT5_lSA_li ; -- Begin function _ZL27rocblas_axpy_kernel_batchedIiLi128ELi8Ef16rocblas_bfloat16PKPKS0_PKPS0_EviT3_lT4_lT_lT5_lSA_li
	.p2align	8
	.type	_ZL27rocblas_axpy_kernel_batchedIiLi128ELi8Ef16rocblas_bfloat16PKPKS0_PKPS0_EviT3_lT4_lT_lT5_lSA_li,@function
_ZL27rocblas_axpy_kernel_batchedIiLi128ELi8Ef16rocblas_bfloat16PKPKS0_PKPS0_EviT3_lT4_lT_lT5_lSA_li: ; @_ZL27rocblas_axpy_kernel_batchedIiLi128ELi8Ef16rocblas_bfloat16PKPKS0_PKPS0_EviT3_lT4_lT_lT5_lSA_li
; %bb.0:
	s_load_b64 s[2:3], s[0:1], 0x0
	s_bfe_u32 s4, ttmp6, 0x4000c
	s_and_b32 s5, ttmp6, 15
	s_add_co_i32 s6, s4, 1
	s_getreg_b32 s4, hwreg(HW_REG_IB_STS2, 6, 4)
	s_mul_i32 s6, ttmp9, s6
	v_and_b32_e32 v1, 0x3ff, v0
	s_add_co_i32 s5, s5, s6
	s_cmp_eq_u32 s4, 0
	v_mov_b32_e32 v3, 0
	s_cselect_b32 s5, ttmp9, s5
	s_delay_alu instid0(SALU_CYCLE_1)
	v_lshl_add_u32 v2, s5, 7, v1
	s_wait_kmcnt 0x0
	s_ashr_i32 s7, s2, 31
	s_mov_b32 s6, s2
	s_mov_b32 s2, exec_lo
	v_cmpx_gt_i64_e64 s[6:7], v[2:3]
	s_cbranch_execz .LBB167_44
; %bb.1:
	s_load_b32 s2, s[0:1], 0x50
	s_bfe_u32 s5, ttmp6, 0x40014
	v_lshrrev_b32_e32 v0, 8, v0
	s_lshr_b32 s6, ttmp7, 16
	s_add_co_i32 s5, s5, 1
	s_bfe_u32 s7, ttmp6, 0x40008
	s_mul_i32 s5, s6, s5
	v_and_b32_e32 v0, 0xffc, v0
	s_add_co_i32 s7, s7, s5
	s_cmp_eq_u32 s4, 0
	s_cselect_b32 s4, s6, s7
	s_delay_alu instid0(VALU_DEP_1) | instid1(SALU_CYCLE_1)
	v_lshl_add_u32 v6, s4, 5, v0
	s_wait_kmcnt 0x0
	s_delay_alu instid0(VALU_DEP_1)
	v_cmp_gt_u32_e32 vcc_lo, s2, v6
	s_and_b32 exec_lo, exec_lo, vcc_lo
	s_cbranch_execz .LBB167_44
; %bb.2:
	s_clause 0x2
	s_load_b32 s4, s[0:1], 0x20
	s_load_b32 s6, s[0:1], 0x40
	s_load_b32 s12, s[0:1], 0x60
	s_wait_kmcnt 0x0
	s_ashr_i32 s5, s4, 31
	s_ashr_i32 s7, s6, 31
	v_mul_u64_e32 v[0:1], s[4:5], v[2:3]
	v_mul_u64_e32 v[2:3], s[6:7], v[2:3]
	s_clause 0x1
	s_load_b128 s[4:7], s[0:1], 0x10
	s_load_b128 s[8:11], s[0:1], 0x30
	s_wait_xcnt 0x0
	s_and_b32 s0, s3, 0x7fff
	s_mov_b32 s1, 0
	s_cmp_lg_u32 s0, 0
	s_cselect_b32 s0, -1, 0
	s_lshl_b32 s3, s3, 16
	s_lshl_b32 s12, s12, 5
	s_branch .LBB167_5
.LBB167_3:                              ;   in Loop: Header=BB167_5 Depth=1
	s_or_b32 exec_lo, exec_lo, s14
	flat_store_d16_hi_b16 v[4:5], v8
.LBB167_4:                              ;   in Loop: Header=BB167_5 Depth=1
	s_wait_xcnt 0x0
	s_or_b32 exec_lo, exec_lo, s13
	v_add_nc_u32_e32 v6, s12, v6
	s_delay_alu instid0(VALU_DEP_1) | instskip(SKIP_1) | instid1(SALU_CYCLE_1)
	v_cmp_le_u32_e32 vcc_lo, s2, v6
	s_or_b32 s1, vcc_lo, s1
	s_and_not1_b32 exec_lo, exec_lo, s1
	s_cbranch_execz .LBB167_44
.LBB167_5:                              ; =>This Inner Loop Header: Depth=1
	s_and_not1_b32 vcc_lo, exec_lo, s0
	s_cbranch_vccnz .LBB167_15
; %bb.6:                                ;   in Loop: Header=BB167_5 Depth=1
	s_wait_kmcnt 0x0
	s_clause 0x1
	global_load_b64 v[4:5], v6, s[4:5] scale_offset
	global_load_b64 v[8:9], v6, s[8:9] scale_offset
	s_wait_loadcnt 0x1
	v_lshl_add_u64 v[4:5], s[6:7], 1, v[4:5]
	s_delay_alu instid0(VALU_DEP_1) | instskip(SKIP_4) | instid1(VALU_DEP_1)
	v_lshl_add_u64 v[4:5], v[0:1], 1, v[4:5]
	flat_load_u16 v10, v[4:5]
	s_wait_loadcnt 0x1
	s_wait_xcnt 0x0
	v_lshl_add_u64 v[4:5], s[10:11], 1, v[8:9]
	v_lshl_add_u64 v[4:5], v[2:3], 1, v[4:5]
	flat_load_u16 v7, v[4:5]
	s_wait_loadcnt_dscnt 0x101
	v_lshlrev_b32_e32 v8, 16, v10
	s_delay_alu instid0(VALU_DEP_1) | instskip(NEXT) | instid1(VALU_DEP_1)
	v_mul_f32_e32 v8, s3, v8
	v_and_b32_e32 v9, 0x7f800000, v8
	s_delay_alu instid0(VALU_DEP_1) | instskip(SKIP_2) | instid1(SALU_CYCLE_1)
	v_cmp_ne_u32_e32 vcc_lo, 0x7f800000, v9
                                        ; implicit-def: $vgpr9
	s_wait_xcnt 0x0
	s_and_saveexec_b32 s13, vcc_lo
	s_xor_b32 s13, exec_lo, s13
; %bb.7:                                ;   in Loop: Header=BB167_5 Depth=1
	v_bfe_u32 v9, v8, 16, 1
	s_delay_alu instid0(VALU_DEP_1)
	v_add3_u32 v9, v8, v9, 0x7fff
                                        ; implicit-def: $vgpr8
; %bb.8:                                ;   in Loop: Header=BB167_5 Depth=1
	s_and_not1_saveexec_b32 s13, s13
; %bb.9:                                ;   in Loop: Header=BB167_5 Depth=1
	v_and_b32_e32 v9, 0xffff, v8
	v_or_b32_e32 v10, 0x10000, v8
	s_delay_alu instid0(VALU_DEP_2) | instskip(NEXT) | instid1(VALU_DEP_2)
	v_cmp_eq_u32_e32 vcc_lo, 0, v9
	v_cndmask_b32_e32 v9, v10, v8, vcc_lo
; %bb.10:                               ;   in Loop: Header=BB167_5 Depth=1
	s_or_b32 exec_lo, exec_lo, s13
	s_delay_alu instid0(VALU_DEP_1) | instskip(SKIP_2) | instid1(VALU_DEP_1)
	v_and_b32_e32 v8, 0xffff0000, v9
	s_wait_loadcnt_dscnt 0x0
	v_lshlrev_b32_e32 v7, 16, v7
	v_add_f32_e32 v7, v7, v8
	s_delay_alu instid0(VALU_DEP_1) | instskip(NEXT) | instid1(VALU_DEP_1)
	v_and_b32_e32 v8, 0x7f800000, v7
	v_cmp_ne_u32_e32 vcc_lo, 0x7f800000, v8
                                        ; implicit-def: $vgpr8
	s_and_saveexec_b32 s13, vcc_lo
	s_delay_alu instid0(SALU_CYCLE_1)
	s_xor_b32 s13, exec_lo, s13
; %bb.11:                               ;   in Loop: Header=BB167_5 Depth=1
	v_bfe_u32 v8, v7, 16, 1
	s_delay_alu instid0(VALU_DEP_1)
	v_add3_u32 v8, v7, v8, 0x7fff
                                        ; implicit-def: $vgpr7
; %bb.12:                               ;   in Loop: Header=BB167_5 Depth=1
	s_and_not1_saveexec_b32 s13, s13
; %bb.13:                               ;   in Loop: Header=BB167_5 Depth=1
	v_and_b32_e32 v8, 0xffff, v7
	v_or_b32_e32 v9, 0x10000, v7
	s_delay_alu instid0(VALU_DEP_2) | instskip(NEXT) | instid1(VALU_DEP_2)
	v_cmp_eq_u32_e32 vcc_lo, 0, v8
	v_cndmask_b32_e32 v8, v9, v7, vcc_lo
; %bb.14:                               ;   in Loop: Header=BB167_5 Depth=1
	s_or_b32 exec_lo, exec_lo, s13
	flat_store_d16_hi_b16 v[4:5], v8
.LBB167_15:                             ;   in Loop: Header=BB167_5 Depth=1
	s_wait_xcnt 0x0
	v_add_nc_u32_e32 v4, 1, v6
	s_delay_alu instid0(VALU_DEP_1) | instskip(SKIP_1) | instid1(SALU_CYCLE_1)
	v_cmp_gt_u32_e32 vcc_lo, s2, v4
	s_and_b32 s14, vcc_lo, s0
	s_and_saveexec_b32 s13, s14
	s_cbranch_execz .LBB167_25
; %bb.16:                               ;   in Loop: Header=BB167_5 Depth=1
	s_wait_kmcnt 0x0
	s_clause 0x1
	global_load_b64 v[4:5], v6, s[4:5] offset:8 scale_offset
	global_load_b64 v[8:9], v6, s[8:9] offset:8 scale_offset
	s_wait_loadcnt 0x1
	v_lshl_add_u64 v[4:5], s[6:7], 1, v[4:5]
	s_delay_alu instid0(VALU_DEP_1) | instskip(SKIP_4) | instid1(VALU_DEP_1)
	v_lshl_add_u64 v[4:5], v[0:1], 1, v[4:5]
	flat_load_u16 v10, v[4:5]
	s_wait_loadcnt 0x1
	s_wait_xcnt 0x0
	v_lshl_add_u64 v[4:5], s[10:11], 1, v[8:9]
	v_lshl_add_u64 v[4:5], v[2:3], 1, v[4:5]
	flat_load_u16 v7, v[4:5]
	s_wait_loadcnt_dscnt 0x101
	v_lshlrev_b32_e32 v8, 16, v10
	s_delay_alu instid0(VALU_DEP_1) | instskip(NEXT) | instid1(VALU_DEP_1)
	v_mul_f32_e32 v8, s3, v8
	v_and_b32_e32 v9, 0x7f800000, v8
	s_delay_alu instid0(VALU_DEP_1) | instskip(SKIP_2) | instid1(SALU_CYCLE_1)
	v_cmp_ne_u32_e32 vcc_lo, 0x7f800000, v9
                                        ; implicit-def: $vgpr9
	s_wait_xcnt 0x0
	s_and_saveexec_b32 s14, vcc_lo
	s_xor_b32 s14, exec_lo, s14
; %bb.17:                               ;   in Loop: Header=BB167_5 Depth=1
	v_bfe_u32 v9, v8, 16, 1
	s_delay_alu instid0(VALU_DEP_1)
	v_add3_u32 v9, v8, v9, 0x7fff
                                        ; implicit-def: $vgpr8
; %bb.18:                               ;   in Loop: Header=BB167_5 Depth=1
	s_and_not1_saveexec_b32 s14, s14
; %bb.19:                               ;   in Loop: Header=BB167_5 Depth=1
	v_and_b32_e32 v9, 0xffff, v8
	v_or_b32_e32 v10, 0x10000, v8
	s_delay_alu instid0(VALU_DEP_2) | instskip(NEXT) | instid1(VALU_DEP_2)
	v_cmp_eq_u32_e32 vcc_lo, 0, v9
	v_cndmask_b32_e32 v9, v10, v8, vcc_lo
; %bb.20:                               ;   in Loop: Header=BB167_5 Depth=1
	s_or_b32 exec_lo, exec_lo, s14
	s_delay_alu instid0(VALU_DEP_1) | instskip(SKIP_2) | instid1(VALU_DEP_1)
	v_and_b32_e32 v8, 0xffff0000, v9
	s_wait_loadcnt_dscnt 0x0
	v_lshlrev_b32_e32 v7, 16, v7
	v_add_f32_e32 v7, v7, v8
	s_delay_alu instid0(VALU_DEP_1) | instskip(NEXT) | instid1(VALU_DEP_1)
	v_and_b32_e32 v8, 0x7f800000, v7
	v_cmp_ne_u32_e32 vcc_lo, 0x7f800000, v8
                                        ; implicit-def: $vgpr8
	s_and_saveexec_b32 s14, vcc_lo
	s_delay_alu instid0(SALU_CYCLE_1)
	s_xor_b32 s14, exec_lo, s14
; %bb.21:                               ;   in Loop: Header=BB167_5 Depth=1
	v_bfe_u32 v8, v7, 16, 1
	s_delay_alu instid0(VALU_DEP_1)
	v_add3_u32 v8, v7, v8, 0x7fff
                                        ; implicit-def: $vgpr7
; %bb.22:                               ;   in Loop: Header=BB167_5 Depth=1
	s_and_not1_saveexec_b32 s14, s14
; %bb.23:                               ;   in Loop: Header=BB167_5 Depth=1
	v_and_b32_e32 v8, 0xffff, v7
	v_or_b32_e32 v9, 0x10000, v7
	s_delay_alu instid0(VALU_DEP_2) | instskip(NEXT) | instid1(VALU_DEP_2)
	v_cmp_eq_u32_e32 vcc_lo, 0, v8
	v_cndmask_b32_e32 v8, v9, v7, vcc_lo
; %bb.24:                               ;   in Loop: Header=BB167_5 Depth=1
	s_or_b32 exec_lo, exec_lo, s14
	flat_store_d16_hi_b16 v[4:5], v8
.LBB167_25:                             ;   in Loop: Header=BB167_5 Depth=1
	s_wait_xcnt 0x0
	s_or_b32 exec_lo, exec_lo, s13
	v_add_nc_u32_e32 v4, 2, v6
	s_delay_alu instid0(VALU_DEP_1) | instskip(SKIP_1) | instid1(SALU_CYCLE_1)
	v_cmp_gt_u32_e32 vcc_lo, s2, v4
	s_and_b32 s14, vcc_lo, s0
	s_and_saveexec_b32 s13, s14
	s_cbranch_execz .LBB167_35
; %bb.26:                               ;   in Loop: Header=BB167_5 Depth=1
	s_wait_kmcnt 0x0
	s_clause 0x1
	global_load_b64 v[4:5], v6, s[4:5] offset:16 scale_offset
	global_load_b64 v[8:9], v6, s[8:9] offset:16 scale_offset
	s_wait_loadcnt 0x1
	v_lshl_add_u64 v[4:5], s[6:7], 1, v[4:5]
	s_delay_alu instid0(VALU_DEP_1) | instskip(SKIP_4) | instid1(VALU_DEP_1)
	v_lshl_add_u64 v[4:5], v[0:1], 1, v[4:5]
	flat_load_u16 v10, v[4:5]
	s_wait_loadcnt 0x1
	s_wait_xcnt 0x0
	v_lshl_add_u64 v[4:5], s[10:11], 1, v[8:9]
	v_lshl_add_u64 v[4:5], v[2:3], 1, v[4:5]
	flat_load_u16 v7, v[4:5]
	s_wait_loadcnt_dscnt 0x101
	v_lshlrev_b32_e32 v8, 16, v10
	s_delay_alu instid0(VALU_DEP_1) | instskip(NEXT) | instid1(VALU_DEP_1)
	v_mul_f32_e32 v8, s3, v8
	v_and_b32_e32 v9, 0x7f800000, v8
	s_delay_alu instid0(VALU_DEP_1) | instskip(SKIP_2) | instid1(SALU_CYCLE_1)
	v_cmp_ne_u32_e32 vcc_lo, 0x7f800000, v9
                                        ; implicit-def: $vgpr9
	s_wait_xcnt 0x0
	s_and_saveexec_b32 s14, vcc_lo
	s_xor_b32 s14, exec_lo, s14
; %bb.27:                               ;   in Loop: Header=BB167_5 Depth=1
	v_bfe_u32 v9, v8, 16, 1
	s_delay_alu instid0(VALU_DEP_1)
	v_add3_u32 v9, v8, v9, 0x7fff
                                        ; implicit-def: $vgpr8
; %bb.28:                               ;   in Loop: Header=BB167_5 Depth=1
	s_and_not1_saveexec_b32 s14, s14
; %bb.29:                               ;   in Loop: Header=BB167_5 Depth=1
	v_and_b32_e32 v9, 0xffff, v8
	v_or_b32_e32 v10, 0x10000, v8
	s_delay_alu instid0(VALU_DEP_2) | instskip(NEXT) | instid1(VALU_DEP_2)
	v_cmp_eq_u32_e32 vcc_lo, 0, v9
	v_cndmask_b32_e32 v9, v10, v8, vcc_lo
; %bb.30:                               ;   in Loop: Header=BB167_5 Depth=1
	s_or_b32 exec_lo, exec_lo, s14
	s_delay_alu instid0(VALU_DEP_1) | instskip(SKIP_2) | instid1(VALU_DEP_1)
	v_and_b32_e32 v8, 0xffff0000, v9
	s_wait_loadcnt_dscnt 0x0
	v_lshlrev_b32_e32 v7, 16, v7
	v_add_f32_e32 v7, v7, v8
	s_delay_alu instid0(VALU_DEP_1) | instskip(NEXT) | instid1(VALU_DEP_1)
	v_and_b32_e32 v8, 0x7f800000, v7
	v_cmp_ne_u32_e32 vcc_lo, 0x7f800000, v8
                                        ; implicit-def: $vgpr8
	s_and_saveexec_b32 s14, vcc_lo
	s_delay_alu instid0(SALU_CYCLE_1)
	s_xor_b32 s14, exec_lo, s14
; %bb.31:                               ;   in Loop: Header=BB167_5 Depth=1
	v_bfe_u32 v8, v7, 16, 1
	s_delay_alu instid0(VALU_DEP_1)
	v_add3_u32 v8, v7, v8, 0x7fff
                                        ; implicit-def: $vgpr7
; %bb.32:                               ;   in Loop: Header=BB167_5 Depth=1
	s_and_not1_saveexec_b32 s14, s14
; %bb.33:                               ;   in Loop: Header=BB167_5 Depth=1
	v_and_b32_e32 v8, 0xffff, v7
	v_or_b32_e32 v9, 0x10000, v7
	s_delay_alu instid0(VALU_DEP_2) | instskip(NEXT) | instid1(VALU_DEP_2)
	v_cmp_eq_u32_e32 vcc_lo, 0, v8
	v_cndmask_b32_e32 v8, v9, v7, vcc_lo
; %bb.34:                               ;   in Loop: Header=BB167_5 Depth=1
	s_or_b32 exec_lo, exec_lo, s14
	flat_store_d16_hi_b16 v[4:5], v8
.LBB167_35:                             ;   in Loop: Header=BB167_5 Depth=1
	s_wait_xcnt 0x0
	s_or_b32 exec_lo, exec_lo, s13
	v_add_nc_u32_e32 v4, 3, v6
	s_delay_alu instid0(VALU_DEP_1) | instskip(SKIP_1) | instid1(SALU_CYCLE_1)
	v_cmp_gt_u32_e32 vcc_lo, s2, v4
	s_and_b32 s14, vcc_lo, s0
	s_and_saveexec_b32 s13, s14
	s_cbranch_execz .LBB167_4
; %bb.36:                               ;   in Loop: Header=BB167_5 Depth=1
	s_wait_kmcnt 0x0
	s_clause 0x1
	global_load_b64 v[4:5], v6, s[4:5] offset:24 scale_offset
	global_load_b64 v[8:9], v6, s[8:9] offset:24 scale_offset
	s_wait_loadcnt 0x1
	v_lshl_add_u64 v[4:5], s[6:7], 1, v[4:5]
	s_delay_alu instid0(VALU_DEP_1) | instskip(SKIP_4) | instid1(VALU_DEP_1)
	v_lshl_add_u64 v[4:5], v[0:1], 1, v[4:5]
	flat_load_u16 v10, v[4:5]
	s_wait_loadcnt 0x1
	s_wait_xcnt 0x0
	v_lshl_add_u64 v[4:5], s[10:11], 1, v[8:9]
	v_lshl_add_u64 v[4:5], v[2:3], 1, v[4:5]
	flat_load_u16 v7, v[4:5]
	s_wait_loadcnt_dscnt 0x101
	v_lshlrev_b32_e32 v8, 16, v10
	s_delay_alu instid0(VALU_DEP_1) | instskip(NEXT) | instid1(VALU_DEP_1)
	v_mul_f32_e32 v8, s3, v8
	v_and_b32_e32 v9, 0x7f800000, v8
	s_delay_alu instid0(VALU_DEP_1) | instskip(SKIP_2) | instid1(SALU_CYCLE_1)
	v_cmp_ne_u32_e32 vcc_lo, 0x7f800000, v9
                                        ; implicit-def: $vgpr9
	s_wait_xcnt 0x0
	s_and_saveexec_b32 s14, vcc_lo
	s_xor_b32 s14, exec_lo, s14
; %bb.37:                               ;   in Loop: Header=BB167_5 Depth=1
	v_bfe_u32 v9, v8, 16, 1
	s_delay_alu instid0(VALU_DEP_1)
	v_add3_u32 v9, v8, v9, 0x7fff
                                        ; implicit-def: $vgpr8
; %bb.38:                               ;   in Loop: Header=BB167_5 Depth=1
	s_and_not1_saveexec_b32 s14, s14
; %bb.39:                               ;   in Loop: Header=BB167_5 Depth=1
	v_and_b32_e32 v9, 0xffff, v8
	v_or_b32_e32 v10, 0x10000, v8
	s_delay_alu instid0(VALU_DEP_2) | instskip(NEXT) | instid1(VALU_DEP_2)
	v_cmp_eq_u32_e32 vcc_lo, 0, v9
	v_cndmask_b32_e32 v9, v10, v8, vcc_lo
; %bb.40:                               ;   in Loop: Header=BB167_5 Depth=1
	s_or_b32 exec_lo, exec_lo, s14
	s_delay_alu instid0(VALU_DEP_1) | instskip(SKIP_2) | instid1(VALU_DEP_1)
	v_and_b32_e32 v8, 0xffff0000, v9
	s_wait_loadcnt_dscnt 0x0
	v_lshlrev_b32_e32 v7, 16, v7
	v_add_f32_e32 v7, v7, v8
	s_delay_alu instid0(VALU_DEP_1) | instskip(NEXT) | instid1(VALU_DEP_1)
	v_and_b32_e32 v8, 0x7f800000, v7
	v_cmp_ne_u32_e32 vcc_lo, 0x7f800000, v8
                                        ; implicit-def: $vgpr8
	s_and_saveexec_b32 s14, vcc_lo
	s_delay_alu instid0(SALU_CYCLE_1)
	s_xor_b32 s14, exec_lo, s14
; %bb.41:                               ;   in Loop: Header=BB167_5 Depth=1
	v_bfe_u32 v8, v7, 16, 1
	s_delay_alu instid0(VALU_DEP_1)
	v_add3_u32 v8, v7, v8, 0x7fff
                                        ; implicit-def: $vgpr7
; %bb.42:                               ;   in Loop: Header=BB167_5 Depth=1
	s_and_not1_saveexec_b32 s14, s14
	s_cbranch_execz .LBB167_3
; %bb.43:                               ;   in Loop: Header=BB167_5 Depth=1
	v_and_b32_e32 v8, 0xffff, v7
	v_or_b32_e32 v9, 0x10000, v7
	s_delay_alu instid0(VALU_DEP_2) | instskip(NEXT) | instid1(VALU_DEP_2)
	v_cmp_eq_u32_e32 vcc_lo, 0, v8
	v_cndmask_b32_e32 v8, v9, v7, vcc_lo
	s_branch .LBB167_3
.LBB167_44:
	s_endpgm
	.section	.rodata,"a",@progbits
	.p2align	6, 0x0
	.amdhsa_kernel _ZL27rocblas_axpy_kernel_batchedIiLi128ELi8Ef16rocblas_bfloat16PKPKS0_PKPS0_EviT3_lT4_lT_lT5_lSA_li
		.amdhsa_group_segment_fixed_size 0
		.amdhsa_private_segment_fixed_size 0
		.amdhsa_kernarg_size 344
		.amdhsa_user_sgpr_count 2
		.amdhsa_user_sgpr_dispatch_ptr 0
		.amdhsa_user_sgpr_queue_ptr 0
		.amdhsa_user_sgpr_kernarg_segment_ptr 1
		.amdhsa_user_sgpr_dispatch_id 0
		.amdhsa_user_sgpr_kernarg_preload_length 0
		.amdhsa_user_sgpr_kernarg_preload_offset 0
		.amdhsa_user_sgpr_private_segment_size 0
		.amdhsa_wavefront_size32 1
		.amdhsa_uses_dynamic_stack 0
		.amdhsa_enable_private_segment 0
		.amdhsa_system_sgpr_workgroup_id_x 1
		.amdhsa_system_sgpr_workgroup_id_y 0
		.amdhsa_system_sgpr_workgroup_id_z 1
		.amdhsa_system_sgpr_workgroup_info 0
		.amdhsa_system_vgpr_workitem_id 1
		.amdhsa_next_free_vgpr 11
		.amdhsa_next_free_sgpr 15
		.amdhsa_named_barrier_count 0
		.amdhsa_reserve_vcc 1
		.amdhsa_float_round_mode_32 0
		.amdhsa_float_round_mode_16_64 0
		.amdhsa_float_denorm_mode_32 3
		.amdhsa_float_denorm_mode_16_64 3
		.amdhsa_fp16_overflow 0
		.amdhsa_memory_ordered 1
		.amdhsa_forward_progress 1
		.amdhsa_inst_pref_size 15
		.amdhsa_round_robin_scheduling 0
		.amdhsa_exception_fp_ieee_invalid_op 0
		.amdhsa_exception_fp_denorm_src 0
		.amdhsa_exception_fp_ieee_div_zero 0
		.amdhsa_exception_fp_ieee_overflow 0
		.amdhsa_exception_fp_ieee_underflow 0
		.amdhsa_exception_fp_ieee_inexact 0
		.amdhsa_exception_int_div_zero 0
	.end_amdhsa_kernel
	.section	.text._ZL27rocblas_axpy_kernel_batchedIiLi128ELi8Ef16rocblas_bfloat16PKPKS0_PKPS0_EviT3_lT4_lT_lT5_lSA_li,"axG",@progbits,_ZL27rocblas_axpy_kernel_batchedIiLi128ELi8Ef16rocblas_bfloat16PKPKS0_PKPS0_EviT3_lT4_lT_lT5_lSA_li,comdat
.Lfunc_end167:
	.size	_ZL27rocblas_axpy_kernel_batchedIiLi128ELi8Ef16rocblas_bfloat16PKPKS0_PKPS0_EviT3_lT4_lT_lT5_lSA_li, .Lfunc_end167-_ZL27rocblas_axpy_kernel_batchedIiLi128ELi8Ef16rocblas_bfloat16PKPKS0_PKPS0_EviT3_lT4_lT_lT5_lSA_li
                                        ; -- End function
	.set _ZL27rocblas_axpy_kernel_batchedIiLi128ELi8Ef16rocblas_bfloat16PKPKS0_PKPS0_EviT3_lT4_lT_lT5_lSA_li.num_vgpr, 11
	.set _ZL27rocblas_axpy_kernel_batchedIiLi128ELi8Ef16rocblas_bfloat16PKPKS0_PKPS0_EviT3_lT4_lT_lT5_lSA_li.num_agpr, 0
	.set _ZL27rocblas_axpy_kernel_batchedIiLi128ELi8Ef16rocblas_bfloat16PKPKS0_PKPS0_EviT3_lT4_lT_lT5_lSA_li.numbered_sgpr, 15
	.set _ZL27rocblas_axpy_kernel_batchedIiLi128ELi8Ef16rocblas_bfloat16PKPKS0_PKPS0_EviT3_lT4_lT_lT5_lSA_li.num_named_barrier, 0
	.set _ZL27rocblas_axpy_kernel_batchedIiLi128ELi8Ef16rocblas_bfloat16PKPKS0_PKPS0_EviT3_lT4_lT_lT5_lSA_li.private_seg_size, 0
	.set _ZL27rocblas_axpy_kernel_batchedIiLi128ELi8Ef16rocblas_bfloat16PKPKS0_PKPS0_EviT3_lT4_lT_lT5_lSA_li.uses_vcc, 1
	.set _ZL27rocblas_axpy_kernel_batchedIiLi128ELi8Ef16rocblas_bfloat16PKPKS0_PKPS0_EviT3_lT4_lT_lT5_lSA_li.uses_flat_scratch, 0
	.set _ZL27rocblas_axpy_kernel_batchedIiLi128ELi8Ef16rocblas_bfloat16PKPKS0_PKPS0_EviT3_lT4_lT_lT5_lSA_li.has_dyn_sized_stack, 0
	.set _ZL27rocblas_axpy_kernel_batchedIiLi128ELi8Ef16rocblas_bfloat16PKPKS0_PKPS0_EviT3_lT4_lT_lT5_lSA_li.has_recursion, 0
	.set _ZL27rocblas_axpy_kernel_batchedIiLi128ELi8Ef16rocblas_bfloat16PKPKS0_PKPS0_EviT3_lT4_lT_lT5_lSA_li.has_indirect_call, 0
	.section	.AMDGPU.csdata,"",@progbits
; Kernel info:
; codeLenInByte = 1796
; TotalNumSgprs: 17
; NumVgprs: 11
; ScratchSize: 0
; MemoryBound: 0
; FloatMode: 240
; IeeeMode: 1
; LDSByteSize: 0 bytes/workgroup (compile time only)
; SGPRBlocks: 0
; VGPRBlocks: 0
; NumSGPRsForWavesPerEU: 17
; NumVGPRsForWavesPerEU: 11
; NamedBarCnt: 0
; Occupancy: 16
; WaveLimiterHint : 1
; COMPUTE_PGM_RSRC2:SCRATCH_EN: 0
; COMPUTE_PGM_RSRC2:USER_SGPR: 2
; COMPUTE_PGM_RSRC2:TRAP_HANDLER: 0
; COMPUTE_PGM_RSRC2:TGID_X_EN: 1
; COMPUTE_PGM_RSRC2:TGID_Y_EN: 0
; COMPUTE_PGM_RSRC2:TGID_Z_EN: 1
; COMPUTE_PGM_RSRC2:TIDIG_COMP_CNT: 1
	.section	.text._ZL19rocblas_axpy_kernelIiLi256EfPK16rocblas_bfloat16PKS2_PKPS0_EviT2_lT3_lT_lT4_lSA_li,"axG",@progbits,_ZL19rocblas_axpy_kernelIiLi256EfPK16rocblas_bfloat16PKS2_PKPS0_EviT2_lT3_lT_lT4_lSA_li,comdat
	.globl	_ZL19rocblas_axpy_kernelIiLi256EfPK16rocblas_bfloat16PKS2_PKPS0_EviT2_lT3_lT_lT4_lSA_li ; -- Begin function _ZL19rocblas_axpy_kernelIiLi256EfPK16rocblas_bfloat16PKS2_PKPS0_EviT2_lT3_lT_lT4_lSA_li
	.p2align	8
	.type	_ZL19rocblas_axpy_kernelIiLi256EfPK16rocblas_bfloat16PKS2_PKPS0_EviT2_lT3_lT_lT4_lSA_li,@function
_ZL19rocblas_axpy_kernelIiLi256EfPK16rocblas_bfloat16PKS2_PKPS0_EviT2_lT3_lT_lT4_lSA_li: ; @_ZL19rocblas_axpy_kernelIiLi256EfPK16rocblas_bfloat16PKS2_PKPS0_EviT2_lT3_lT_lT4_lSA_li
; %bb.0:
	s_load_b32 s16, s[0:1], 0x58
	s_bfe_u32 s2, ttmp6, 0x40014
	s_lshr_b32 s3, ttmp7, 16
	s_add_co_i32 s2, s2, 1
	s_bfe_u32 s5, ttmp6, 0x40008
	s_mul_i32 s2, s3, s2
	s_getreg_b32 s4, hwreg(HW_REG_IB_STS2, 6, 4)
	s_add_co_i32 s5, s5, s2
	s_cmp_eq_u32 s4, 0
	s_cselect_b32 s2, s3, s5
	s_mov_b32 s3, 0
	s_wait_kmcnt 0x0
	s_cmp_ge_u32 s2, s16
	s_cbranch_scc1 .LBB168_13
; %bb.1:
	s_clause 0x2
	s_load_b32 s18, s[0:1], 0x0
	s_load_b32 s6, s[0:1], 0x48
	;; [unrolled: 1-line block ×3, first 2 shown]
	s_bfe_u32 s5, ttmp6, 0x4000c
	s_and_b32 s7, ttmp6, 15
	s_add_co_i32 s5, s5, 1
	v_mov_b32_e32 v1, 0
	s_mul_i32 s5, ttmp9, s5
	s_delay_alu instid0(SALU_CYCLE_1)
	s_add_co_i32 s5, s7, s5
	s_wait_kmcnt 0x0
	s_ashr_i32 s19, s18, 31
	s_ashr_i32 s7, s6, 31
	;; [unrolled: 1-line block ×3, first 2 shown]
	s_cmp_eq_u32 s4, 0
	s_cselect_b32 s4, ttmp9, s5
	s_delay_alu instid0(SALU_CYCLE_1) | instskip(NEXT) | instid1(VALU_DEP_1)
	v_lshl_or_b32 v0, s4, 8, v0
	v_mul_u64_e32 v[2:3], s[8:9], v[0:1]
	v_mul_u64_e32 v[4:5], s[6:7], v[0:1]
	s_clause 0x1
	s_load_b256 s[4:11], s[0:1], 0x8
	s_load_b128 s[12:15], s[0:1], 0x38
	v_cmp_gt_i64_e32 vcc_lo, s[18:19], v[0:1]
	s_wait_kmcnt 0x0
	s_lshl_b64 s[10:11], s[10:11], 1
	s_lshl_b64 s[14:15], s[14:15], 1
	s_branch .LBB168_4
.LBB168_2:                              ;   in Loop: Header=BB168_4 Depth=1
	s_or_b32 exec_lo, exec_lo, s17
	flat_store_d16_hi_b16 v[6:7], v8
.LBB168_3:                              ;   in Loop: Header=BB168_4 Depth=1
	s_wait_xcnt 0x0
	s_or_b32 exec_lo, exec_lo, s1
	s_add_co_i32 s2, s2, 0x10000
	s_delay_alu instid0(SALU_CYCLE_1)
	s_cmp_lt_u32 s2, s16
	s_cbranch_scc0 .LBB168_13
.LBB168_4:                              ; =>This Inner Loop Header: Depth=1
	s_mul_u64 s[0:1], s[6:7], s[2:3]
	s_delay_alu instid0(SALU_CYCLE_1) | instskip(NEXT) | instid1(SALU_CYCLE_1)
	s_lshl_b64 s[0:1], s[0:1], 1
	s_add_nc_u64 s[0:1], s[4:5], s[0:1]
	global_load_u16 v8, v1, s[0:1]
	s_wait_loadcnt 0x0
	s_wait_xcnt 0x0
	v_readfirstlane_b32 s0, v8
	s_and_b32 s0, s0, 0x7fff
	s_delay_alu instid0(SALU_CYCLE_1) | instskip(SKIP_1) | instid1(SALU_CYCLE_1)
	s_cmp_lg_u32 s0, 0
	s_cselect_b32 s0, -1, 0
	s_and_b32 s0, vcc_lo, s0
	s_delay_alu instid0(SALU_CYCLE_1)
	s_and_saveexec_b32 s1, s0
	s_cbranch_execz .LBB168_3
; %bb.5:                                ;   in Loop: Header=BB168_4 Depth=1
	s_lshl_b64 s[18:19], s[2:3], 3
	v_lshlrev_b32_e32 v8, 16, v8
	s_add_nc_u64 s[20:21], s[8:9], s[18:19]
	s_add_nc_u64 s[18:19], s[12:13], s[18:19]
	s_load_b64 s[20:21], s[20:21], 0x0
	s_wait_kmcnt 0x0
	s_wait_xcnt 0x0
	s_add_nc_u64 s[20:21], s[20:21], s[10:11]
	s_load_b64 s[18:19], s[18:19], 0x0
	v_lshl_add_u64 v[6:7], v[2:3], 1, s[20:21]
	flat_load_u16 v9, v[6:7]
	s_wait_kmcnt 0x0
	s_add_nc_u64 s[18:19], s[18:19], s[14:15]
	s_wait_xcnt 0x0
	v_lshl_add_u64 v[6:7], v[4:5], 1, s[18:19]
	flat_load_u16 v0, v[6:7]
	s_wait_loadcnt_dscnt 0x101
	v_lshlrev_b32_e32 v9, 16, v9
	s_delay_alu instid0(VALU_DEP_1) | instskip(NEXT) | instid1(VALU_DEP_1)
	v_mul_f32_e32 v8, v9, v8
	v_and_b32_e32 v9, 0x7f800000, v8
	s_delay_alu instid0(VALU_DEP_1) | instskip(SKIP_2) | instid1(SALU_CYCLE_1)
	v_cmp_ne_u32_e64 s0, 0x7f800000, v9
                                        ; implicit-def: $vgpr9
	s_wait_xcnt 0x0
	s_and_saveexec_b32 s17, s0
	s_xor_b32 s0, exec_lo, s17
; %bb.6:                                ;   in Loop: Header=BB168_4 Depth=1
	v_bfe_u32 v9, v8, 16, 1
	s_delay_alu instid0(VALU_DEP_1)
	v_add3_u32 v9, v8, v9, 0x7fff
                                        ; implicit-def: $vgpr8
; %bb.7:                                ;   in Loop: Header=BB168_4 Depth=1
	s_and_not1_saveexec_b32 s17, s0
; %bb.8:                                ;   in Loop: Header=BB168_4 Depth=1
	v_and_b32_e32 v9, 0xffff, v8
	v_or_b32_e32 v10, 0x10000, v8
	s_delay_alu instid0(VALU_DEP_2) | instskip(NEXT) | instid1(VALU_DEP_1)
	v_cmp_eq_u32_e64 s0, 0, v9
	v_cndmask_b32_e64 v9, v10, v8, s0
; %bb.9:                                ;   in Loop: Header=BB168_4 Depth=1
	s_or_b32 exec_lo, exec_lo, s17
	s_delay_alu instid0(VALU_DEP_1) | instskip(SKIP_2) | instid1(VALU_DEP_1)
	v_and_b32_e32 v8, 0xffff0000, v9
	s_wait_loadcnt_dscnt 0x0
	v_lshlrev_b32_e32 v0, 16, v0
	v_add_f32_e32 v0, v0, v8
	s_delay_alu instid0(VALU_DEP_1) | instskip(NEXT) | instid1(VALU_DEP_1)
	v_and_b32_e32 v8, 0x7f800000, v0
	v_cmp_ne_u32_e64 s0, 0x7f800000, v8
                                        ; implicit-def: $vgpr8
	s_and_saveexec_b32 s17, s0
	s_delay_alu instid0(SALU_CYCLE_1)
	s_xor_b32 s0, exec_lo, s17
; %bb.10:                               ;   in Loop: Header=BB168_4 Depth=1
	v_bfe_u32 v8, v0, 16, 1
	s_delay_alu instid0(VALU_DEP_1)
	v_add3_u32 v8, v0, v8, 0x7fff
                                        ; implicit-def: $vgpr0
; %bb.11:                               ;   in Loop: Header=BB168_4 Depth=1
	s_and_not1_saveexec_b32 s17, s0
	s_cbranch_execz .LBB168_2
; %bb.12:                               ;   in Loop: Header=BB168_4 Depth=1
	v_and_b32_e32 v8, 0xffff, v0
	v_or_b32_e32 v9, 0x10000, v0
	s_delay_alu instid0(VALU_DEP_2) | instskip(NEXT) | instid1(VALU_DEP_1)
	v_cmp_eq_u32_e64 s0, 0, v8
	v_cndmask_b32_e64 v8, v9, v0, s0
	s_branch .LBB168_2
.LBB168_13:
	s_endpgm
	.section	.rodata,"a",@progbits
	.p2align	6, 0x0
	.amdhsa_kernel _ZL19rocblas_axpy_kernelIiLi256EfPK16rocblas_bfloat16PKS2_PKPS0_EviT2_lT3_lT_lT4_lSA_li
		.amdhsa_group_segment_fixed_size 0
		.amdhsa_private_segment_fixed_size 0
		.amdhsa_kernarg_size 92
		.amdhsa_user_sgpr_count 2
		.amdhsa_user_sgpr_dispatch_ptr 0
		.amdhsa_user_sgpr_queue_ptr 0
		.amdhsa_user_sgpr_kernarg_segment_ptr 1
		.amdhsa_user_sgpr_dispatch_id 0
		.amdhsa_user_sgpr_kernarg_preload_length 0
		.amdhsa_user_sgpr_kernarg_preload_offset 0
		.amdhsa_user_sgpr_private_segment_size 0
		.amdhsa_wavefront_size32 1
		.amdhsa_uses_dynamic_stack 0
		.amdhsa_enable_private_segment 0
		.amdhsa_system_sgpr_workgroup_id_x 1
		.amdhsa_system_sgpr_workgroup_id_y 0
		.amdhsa_system_sgpr_workgroup_id_z 1
		.amdhsa_system_sgpr_workgroup_info 0
		.amdhsa_system_vgpr_workitem_id 0
		.amdhsa_next_free_vgpr 11
		.amdhsa_next_free_sgpr 22
		.amdhsa_named_barrier_count 0
		.amdhsa_reserve_vcc 1
		.amdhsa_float_round_mode_32 0
		.amdhsa_float_round_mode_16_64 0
		.amdhsa_float_denorm_mode_32 3
		.amdhsa_float_denorm_mode_16_64 3
		.amdhsa_fp16_overflow 0
		.amdhsa_memory_ordered 1
		.amdhsa_forward_progress 1
		.amdhsa_inst_pref_size 6
		.amdhsa_round_robin_scheduling 0
		.amdhsa_exception_fp_ieee_invalid_op 0
		.amdhsa_exception_fp_denorm_src 0
		.amdhsa_exception_fp_ieee_div_zero 0
		.amdhsa_exception_fp_ieee_overflow 0
		.amdhsa_exception_fp_ieee_underflow 0
		.amdhsa_exception_fp_ieee_inexact 0
		.amdhsa_exception_int_div_zero 0
	.end_amdhsa_kernel
	.section	.text._ZL19rocblas_axpy_kernelIiLi256EfPK16rocblas_bfloat16PKS2_PKPS0_EviT2_lT3_lT_lT4_lSA_li,"axG",@progbits,_ZL19rocblas_axpy_kernelIiLi256EfPK16rocblas_bfloat16PKS2_PKPS0_EviT2_lT3_lT_lT4_lSA_li,comdat
.Lfunc_end168:
	.size	_ZL19rocblas_axpy_kernelIiLi256EfPK16rocblas_bfloat16PKS2_PKPS0_EviT2_lT3_lT_lT4_lSA_li, .Lfunc_end168-_ZL19rocblas_axpy_kernelIiLi256EfPK16rocblas_bfloat16PKS2_PKPS0_EviT2_lT3_lT_lT4_lSA_li
                                        ; -- End function
	.set _ZL19rocblas_axpy_kernelIiLi256EfPK16rocblas_bfloat16PKS2_PKPS0_EviT2_lT3_lT_lT4_lSA_li.num_vgpr, 11
	.set _ZL19rocblas_axpy_kernelIiLi256EfPK16rocblas_bfloat16PKS2_PKPS0_EviT2_lT3_lT_lT4_lSA_li.num_agpr, 0
	.set _ZL19rocblas_axpy_kernelIiLi256EfPK16rocblas_bfloat16PKS2_PKPS0_EviT2_lT3_lT_lT4_lSA_li.numbered_sgpr, 22
	.set _ZL19rocblas_axpy_kernelIiLi256EfPK16rocblas_bfloat16PKS2_PKPS0_EviT2_lT3_lT_lT4_lSA_li.num_named_barrier, 0
	.set _ZL19rocblas_axpy_kernelIiLi256EfPK16rocblas_bfloat16PKS2_PKPS0_EviT2_lT3_lT_lT4_lSA_li.private_seg_size, 0
	.set _ZL19rocblas_axpy_kernelIiLi256EfPK16rocblas_bfloat16PKS2_PKPS0_EviT2_lT3_lT_lT4_lSA_li.uses_vcc, 1
	.set _ZL19rocblas_axpy_kernelIiLi256EfPK16rocblas_bfloat16PKS2_PKPS0_EviT2_lT3_lT_lT4_lSA_li.uses_flat_scratch, 0
	.set _ZL19rocblas_axpy_kernelIiLi256EfPK16rocblas_bfloat16PKS2_PKPS0_EviT2_lT3_lT_lT4_lSA_li.has_dyn_sized_stack, 0
	.set _ZL19rocblas_axpy_kernelIiLi256EfPK16rocblas_bfloat16PKS2_PKPS0_EviT2_lT3_lT_lT4_lSA_li.has_recursion, 0
	.set _ZL19rocblas_axpy_kernelIiLi256EfPK16rocblas_bfloat16PKS2_PKPS0_EviT2_lT3_lT_lT4_lSA_li.has_indirect_call, 0
	.section	.AMDGPU.csdata,"",@progbits
; Kernel info:
; codeLenInByte = 684
; TotalNumSgprs: 24
; NumVgprs: 11
; ScratchSize: 0
; MemoryBound: 0
; FloatMode: 240
; IeeeMode: 1
; LDSByteSize: 0 bytes/workgroup (compile time only)
; SGPRBlocks: 0
; VGPRBlocks: 0
; NumSGPRsForWavesPerEU: 24
; NumVGPRsForWavesPerEU: 11
; NamedBarCnt: 0
; Occupancy: 16
; WaveLimiterHint : 1
; COMPUTE_PGM_RSRC2:SCRATCH_EN: 0
; COMPUTE_PGM_RSRC2:USER_SGPR: 2
; COMPUTE_PGM_RSRC2:TRAP_HANDLER: 0
; COMPUTE_PGM_RSRC2:TGID_X_EN: 1
; COMPUTE_PGM_RSRC2:TGID_Y_EN: 0
; COMPUTE_PGM_RSRC2:TGID_Z_EN: 1
; COMPUTE_PGM_RSRC2:TIDIG_COMP_CNT: 0
	.section	.text._ZL19rocblas_axpy_kernelIiLi256Ef16rocblas_bfloat16PKPKS0_PKPS0_EviT2_lT3_lT_lT4_lSA_li,"axG",@progbits,_ZL19rocblas_axpy_kernelIiLi256Ef16rocblas_bfloat16PKPKS0_PKPS0_EviT2_lT3_lT_lT4_lSA_li,comdat
	.globl	_ZL19rocblas_axpy_kernelIiLi256Ef16rocblas_bfloat16PKPKS0_PKPS0_EviT2_lT3_lT_lT4_lSA_li ; -- Begin function _ZL19rocblas_axpy_kernelIiLi256Ef16rocblas_bfloat16PKPKS0_PKPS0_EviT2_lT3_lT_lT4_lSA_li
	.p2align	8
	.type	_ZL19rocblas_axpy_kernelIiLi256Ef16rocblas_bfloat16PKPKS0_PKPS0_EviT2_lT3_lT_lT4_lSA_li,@function
_ZL19rocblas_axpy_kernelIiLi256Ef16rocblas_bfloat16PKPKS0_PKPS0_EviT2_lT3_lT_lT4_lSA_li: ; @_ZL19rocblas_axpy_kernelIiLi256Ef16rocblas_bfloat16PKPKS0_PKPS0_EviT2_lT3_lT_lT4_lSA_li
; %bb.0:
	s_load_b32 s12, s[0:1], 0x50
	s_bfe_u32 s2, ttmp6, 0x40014
	s_lshr_b32 s3, ttmp7, 16
	s_add_co_i32 s2, s2, 1
	s_bfe_u32 s5, ttmp6, 0x40008
	s_mul_i32 s4, s3, s2
	s_getreg_b32 s2, hwreg(HW_REG_IB_STS2, 6, 4)
	s_add_co_i32 s5, s5, s4
	s_cmp_eq_u32 s2, 0
	s_cselect_b32 s13, s3, s5
	s_wait_kmcnt 0x0
	s_cmp_ge_u32 s13, s12
	s_cbranch_scc1 .LBB169_13
; %bb.1:
	s_clause 0x1
	s_load_b32 s4, s[0:1], 0x40
	s_load_b32 s6, s[0:1], 0x20
	s_bfe_u32 s3, ttmp6, 0x4000c
	s_and_b32 s5, ttmp6, 15
	s_add_co_i32 s3, s3, 1
	v_mov_b32_e32 v5, 0
	s_mul_i32 s3, ttmp9, s3
	s_delay_alu instid0(SALU_CYCLE_1)
	s_add_co_i32 s8, s5, s3
	s_wait_kmcnt 0x0
	s_ashr_i32 s5, s4, 31
	s_ashr_i32 s7, s6, 31
	s_cmp_eq_u32 s2, 0
	s_load_b64 s[2:3], s[0:1], 0x0
	s_cselect_b32 s8, ttmp9, s8
	s_delay_alu instid0(SALU_CYCLE_1) | instskip(NEXT) | instid1(VALU_DEP_1)
	v_lshl_or_b32 v4, s8, 8, v0
	v_mul_u64_e32 v[0:1], s[6:7], v[4:5]
	v_mul_u64_e32 v[2:3], s[4:5], v[4:5]
	s_clause 0x1
	s_load_b128 s[4:7], s[0:1], 0x10
	s_load_b128 s[8:11], s[0:1], 0x30
	s_wait_kmcnt 0x0
	s_and_b32 s0, s3, 0x7fff
	s_delay_alu instid0(SALU_CYCLE_1)
	s_cmp_lg_u32 s0, 0
	s_mov_b32 s0, s2
	s_cselect_b32 s14, -1, 0
	s_ashr_i32 s1, s2, 31
	s_lshl_b32 s15, s3, 16
	v_cmp_gt_i64_e32 vcc_lo, s[0:1], v[4:5]
	s_lshl_b64 s[0:1], s[6:7], 1
	s_lshl_b64 s[2:3], s[10:11], 1
	s_and_b32 s14, vcc_lo, s14
	s_branch .LBB169_4
.LBB169_2:                              ;   in Loop: Header=BB169_4 Depth=1
	s_or_b32 exec_lo, exec_lo, s7
	flat_store_d16_hi_b16 v[4:5], v7
.LBB169_3:                              ;   in Loop: Header=BB169_4 Depth=1
	s_wait_xcnt 0x0
	s_or_b32 exec_lo, exec_lo, s6
	s_add_co_i32 s13, s13, 0x10000
	s_delay_alu instid0(SALU_CYCLE_1)
	s_cmp_lt_u32 s13, s12
	s_cbranch_scc0 .LBB169_13
.LBB169_4:                              ; =>This Inner Loop Header: Depth=1
	s_and_saveexec_b32 s6, s14
	s_cbranch_execz .LBB169_3
; %bb.5:                                ;   in Loop: Header=BB169_4 Depth=1
	s_load_b64 s[10:11], s[4:5], s13 offset:0x0 scale_offset
	s_load_b64 s[16:17], s[8:9], s13 offset:0x0 scale_offset
	s_wait_kmcnt 0x0
	s_add_nc_u64 s[10:11], s[10:11], s[0:1]
	s_delay_alu instid0(VALU_DEP_3) | instid1(SALU_CYCLE_1)
	v_lshl_add_u64 v[4:5], v[0:1], 1, s[10:11]
	s_add_nc_u64 s[10:11], s[16:17], s[2:3]
	flat_load_u16 v7, v[4:5]
	s_wait_xcnt 0x0
	v_lshl_add_u64 v[4:5], v[2:3], 1, s[10:11]
	flat_load_u16 v6, v[4:5]
	s_wait_loadcnt_dscnt 0x101
	v_lshlrev_b32_e32 v7, 16, v7
	s_delay_alu instid0(VALU_DEP_1) | instskip(NEXT) | instid1(VALU_DEP_1)
	v_mul_f32_e32 v7, s15, v7
	v_and_b32_e32 v8, 0x7f800000, v7
	s_delay_alu instid0(VALU_DEP_1) | instskip(SKIP_2) | instid1(SALU_CYCLE_1)
	v_cmp_ne_u32_e32 vcc_lo, 0x7f800000, v8
                                        ; implicit-def: $vgpr8
	s_wait_xcnt 0x0
	s_and_saveexec_b32 s7, vcc_lo
	s_xor_b32 s7, exec_lo, s7
; %bb.6:                                ;   in Loop: Header=BB169_4 Depth=1
	v_bfe_u32 v8, v7, 16, 1
	s_delay_alu instid0(VALU_DEP_1)
	v_add3_u32 v8, v7, v8, 0x7fff
                                        ; implicit-def: $vgpr7
; %bb.7:                                ;   in Loop: Header=BB169_4 Depth=1
	s_and_not1_saveexec_b32 s7, s7
; %bb.8:                                ;   in Loop: Header=BB169_4 Depth=1
	v_and_b32_e32 v8, 0xffff, v7
	v_or_b32_e32 v9, 0x10000, v7
	s_delay_alu instid0(VALU_DEP_2) | instskip(NEXT) | instid1(VALU_DEP_2)
	v_cmp_eq_u32_e32 vcc_lo, 0, v8
	v_cndmask_b32_e32 v8, v9, v7, vcc_lo
; %bb.9:                                ;   in Loop: Header=BB169_4 Depth=1
	s_or_b32 exec_lo, exec_lo, s7
	s_delay_alu instid0(VALU_DEP_1) | instskip(SKIP_2) | instid1(VALU_DEP_1)
	v_and_b32_e32 v7, 0xffff0000, v8
	s_wait_loadcnt_dscnt 0x0
	v_lshlrev_b32_e32 v6, 16, v6
	v_add_f32_e32 v6, v6, v7
	s_delay_alu instid0(VALU_DEP_1) | instskip(NEXT) | instid1(VALU_DEP_1)
	v_and_b32_e32 v7, 0x7f800000, v6
	v_cmp_ne_u32_e32 vcc_lo, 0x7f800000, v7
                                        ; implicit-def: $vgpr7
	s_and_saveexec_b32 s7, vcc_lo
	s_delay_alu instid0(SALU_CYCLE_1)
	s_xor_b32 s7, exec_lo, s7
; %bb.10:                               ;   in Loop: Header=BB169_4 Depth=1
	v_bfe_u32 v7, v6, 16, 1
	s_delay_alu instid0(VALU_DEP_1)
	v_add3_u32 v7, v6, v7, 0x7fff
                                        ; implicit-def: $vgpr6
; %bb.11:                               ;   in Loop: Header=BB169_4 Depth=1
	s_and_not1_saveexec_b32 s7, s7
	s_cbranch_execz .LBB169_2
; %bb.12:                               ;   in Loop: Header=BB169_4 Depth=1
	v_and_b32_e32 v7, 0xffff, v6
	v_or_b32_e32 v8, 0x10000, v6
	s_delay_alu instid0(VALU_DEP_2) | instskip(NEXT) | instid1(VALU_DEP_2)
	v_cmp_eq_u32_e32 vcc_lo, 0, v7
	v_cndmask_b32_e32 v7, v8, v6, vcc_lo
	s_branch .LBB169_2
.LBB169_13:
	s_endpgm
	.section	.rodata,"a",@progbits
	.p2align	6, 0x0
	.amdhsa_kernel _ZL19rocblas_axpy_kernelIiLi256Ef16rocblas_bfloat16PKPKS0_PKPS0_EviT2_lT3_lT_lT4_lSA_li
		.amdhsa_group_segment_fixed_size 0
		.amdhsa_private_segment_fixed_size 0
		.amdhsa_kernarg_size 84
		.amdhsa_user_sgpr_count 2
		.amdhsa_user_sgpr_dispatch_ptr 0
		.amdhsa_user_sgpr_queue_ptr 0
		.amdhsa_user_sgpr_kernarg_segment_ptr 1
		.amdhsa_user_sgpr_dispatch_id 0
		.amdhsa_user_sgpr_kernarg_preload_length 0
		.amdhsa_user_sgpr_kernarg_preload_offset 0
		.amdhsa_user_sgpr_private_segment_size 0
		.amdhsa_wavefront_size32 1
		.amdhsa_uses_dynamic_stack 0
		.amdhsa_enable_private_segment 0
		.amdhsa_system_sgpr_workgroup_id_x 1
		.amdhsa_system_sgpr_workgroup_id_y 0
		.amdhsa_system_sgpr_workgroup_id_z 1
		.amdhsa_system_sgpr_workgroup_info 0
		.amdhsa_system_vgpr_workitem_id 0
		.amdhsa_next_free_vgpr 10
		.amdhsa_next_free_sgpr 18
		.amdhsa_named_barrier_count 0
		.amdhsa_reserve_vcc 1
		.amdhsa_float_round_mode_32 0
		.amdhsa_float_round_mode_16_64 0
		.amdhsa_float_denorm_mode_32 3
		.amdhsa_float_denorm_mode_16_64 3
		.amdhsa_fp16_overflow 0
		.amdhsa_memory_ordered 1
		.amdhsa_forward_progress 1
		.amdhsa_inst_pref_size 5
		.amdhsa_round_robin_scheduling 0
		.amdhsa_exception_fp_ieee_invalid_op 0
		.amdhsa_exception_fp_denorm_src 0
		.amdhsa_exception_fp_ieee_div_zero 0
		.amdhsa_exception_fp_ieee_overflow 0
		.amdhsa_exception_fp_ieee_underflow 0
		.amdhsa_exception_fp_ieee_inexact 0
		.amdhsa_exception_int_div_zero 0
	.end_amdhsa_kernel
	.section	.text._ZL19rocblas_axpy_kernelIiLi256Ef16rocblas_bfloat16PKPKS0_PKPS0_EviT2_lT3_lT_lT4_lSA_li,"axG",@progbits,_ZL19rocblas_axpy_kernelIiLi256Ef16rocblas_bfloat16PKPKS0_PKPS0_EviT2_lT3_lT_lT4_lSA_li,comdat
.Lfunc_end169:
	.size	_ZL19rocblas_axpy_kernelIiLi256Ef16rocblas_bfloat16PKPKS0_PKPS0_EviT2_lT3_lT_lT4_lSA_li, .Lfunc_end169-_ZL19rocblas_axpy_kernelIiLi256Ef16rocblas_bfloat16PKPKS0_PKPS0_EviT2_lT3_lT_lT4_lSA_li
                                        ; -- End function
	.set _ZL19rocblas_axpy_kernelIiLi256Ef16rocblas_bfloat16PKPKS0_PKPS0_EviT2_lT3_lT_lT4_lSA_li.num_vgpr, 10
	.set _ZL19rocblas_axpy_kernelIiLi256Ef16rocblas_bfloat16PKPKS0_PKPS0_EviT2_lT3_lT_lT4_lSA_li.num_agpr, 0
	.set _ZL19rocblas_axpy_kernelIiLi256Ef16rocblas_bfloat16PKPKS0_PKPS0_EviT2_lT3_lT_lT4_lSA_li.numbered_sgpr, 18
	.set _ZL19rocblas_axpy_kernelIiLi256Ef16rocblas_bfloat16PKPKS0_PKPS0_EviT2_lT3_lT_lT4_lSA_li.num_named_barrier, 0
	.set _ZL19rocblas_axpy_kernelIiLi256Ef16rocblas_bfloat16PKPKS0_PKPS0_EviT2_lT3_lT_lT4_lSA_li.private_seg_size, 0
	.set _ZL19rocblas_axpy_kernelIiLi256Ef16rocblas_bfloat16PKPKS0_PKPS0_EviT2_lT3_lT_lT4_lSA_li.uses_vcc, 1
	.set _ZL19rocblas_axpy_kernelIiLi256Ef16rocblas_bfloat16PKPKS0_PKPS0_EviT2_lT3_lT_lT4_lSA_li.uses_flat_scratch, 0
	.set _ZL19rocblas_axpy_kernelIiLi256Ef16rocblas_bfloat16PKPKS0_PKPS0_EviT2_lT3_lT_lT4_lSA_li.has_dyn_sized_stack, 0
	.set _ZL19rocblas_axpy_kernelIiLi256Ef16rocblas_bfloat16PKPKS0_PKPS0_EviT2_lT3_lT_lT4_lSA_li.has_recursion, 0
	.set _ZL19rocblas_axpy_kernelIiLi256Ef16rocblas_bfloat16PKPKS0_PKPS0_EviT2_lT3_lT_lT4_lSA_li.has_indirect_call, 0
	.section	.AMDGPU.csdata,"",@progbits
; Kernel info:
; codeLenInByte = 600
; TotalNumSgprs: 20
; NumVgprs: 10
; ScratchSize: 0
; MemoryBound: 0
; FloatMode: 240
; IeeeMode: 1
; LDSByteSize: 0 bytes/workgroup (compile time only)
; SGPRBlocks: 0
; VGPRBlocks: 0
; NumSGPRsForWavesPerEU: 20
; NumVGPRsForWavesPerEU: 10
; NamedBarCnt: 0
; Occupancy: 16
; WaveLimiterHint : 1
; COMPUTE_PGM_RSRC2:SCRATCH_EN: 0
; COMPUTE_PGM_RSRC2:USER_SGPR: 2
; COMPUTE_PGM_RSRC2:TRAP_HANDLER: 0
; COMPUTE_PGM_RSRC2:TGID_X_EN: 1
; COMPUTE_PGM_RSRC2:TGID_Y_EN: 0
; COMPUTE_PGM_RSRC2:TGID_Z_EN: 1
; COMPUTE_PGM_RSRC2:TIDIG_COMP_CNT: 0
	.section	.text._ZL19rocblas_axpy_kernelIlLi256EfPK16rocblas_bfloat16PKS2_PKPS0_EviT2_lT3_lT_lT4_lSA_li,"axG",@progbits,_ZL19rocblas_axpy_kernelIlLi256EfPK16rocblas_bfloat16PKS2_PKPS0_EviT2_lT3_lT_lT4_lSA_li,comdat
	.globl	_ZL19rocblas_axpy_kernelIlLi256EfPK16rocblas_bfloat16PKS2_PKPS0_EviT2_lT3_lT_lT4_lSA_li ; -- Begin function _ZL19rocblas_axpy_kernelIlLi256EfPK16rocblas_bfloat16PKS2_PKPS0_EviT2_lT3_lT_lT4_lSA_li
	.p2align	8
	.type	_ZL19rocblas_axpy_kernelIlLi256EfPK16rocblas_bfloat16PKS2_PKPS0_EviT2_lT3_lT_lT4_lSA_li,@function
_ZL19rocblas_axpy_kernelIlLi256EfPK16rocblas_bfloat16PKS2_PKPS0_EviT2_lT3_lT_lT4_lSA_li: ; @_ZL19rocblas_axpy_kernelIlLi256EfPK16rocblas_bfloat16PKS2_PKPS0_EviT2_lT3_lT_lT4_lSA_li
; %bb.0:
	s_load_b32 s16, s[0:1], 0x58
	s_bfe_u32 s2, ttmp6, 0x40014
	s_lshr_b32 s3, ttmp7, 16
	s_add_co_i32 s2, s2, 1
	s_bfe_u32 s4, ttmp6, 0x40008
	s_mul_i32 s2, s3, s2
	s_getreg_b32 s8, hwreg(HW_REG_IB_STS2, 6, 4)
	s_add_co_i32 s4, s4, s2
	s_cmp_eq_u32 s8, 0
	s_cselect_b32 s2, s3, s4
	s_mov_b32 s3, 0
	s_wait_kmcnt 0x0
	s_cmp_ge_u32 s2, s16
	s_cbranch_scc1 .LBB170_13
; %bb.1:
	s_clause 0x2
	s_load_b32 s18, s[0:1], 0x0
	s_load_b128 s[12:15], s[0:1], 0x20
	s_load_b128 s[20:23], s[0:1], 0x40
	s_bfe_u32 s4, ttmp6, 0x4000c
	s_and_b32 s9, ttmp6, 15
	s_add_co_i32 s4, s4, 1
	v_mov_b32_e32 v1, 0
	s_mul_i32 s10, ttmp9, s4
	s_load_b128 s[4:7], s[0:1], 0x8
	s_add_co_i32 s9, s9, s10
	s_wait_kmcnt 0x0
	s_ashr_i32 s19, s18, 31
	s_cmp_eq_u32 s8, 0
	s_cselect_b32 s8, ttmp9, s9
	s_lshl_b64 s[12:13], s[12:13], 1
	v_lshl_or_b32 v0, s8, 8, v0
	s_clause 0x1
	s_load_b64 s[8:9], s[0:1], 0x18
	s_load_b64 s[10:11], s[0:1], 0x38
	s_delay_alu instid0(VALU_DEP_1)
	v_mul_u64_e32 v[2:3], s[14:15], v[0:1]
	v_mul_u64_e32 v[4:5], s[22:23], v[0:1]
	s_lshl_b64 s[14:15], s[20:21], 1
	v_cmp_gt_i64_e32 vcc_lo, s[18:19], v[0:1]
	s_branch .LBB170_4
.LBB170_2:                              ;   in Loop: Header=BB170_4 Depth=1
	s_or_b32 exec_lo, exec_lo, s17
	flat_store_d16_hi_b16 v[6:7], v8
.LBB170_3:                              ;   in Loop: Header=BB170_4 Depth=1
	s_wait_xcnt 0x0
	s_or_b32 exec_lo, exec_lo, s1
	s_add_co_i32 s2, s2, 0x10000
	s_delay_alu instid0(SALU_CYCLE_1)
	s_cmp_lt_u32 s2, s16
	s_cbranch_scc0 .LBB170_13
.LBB170_4:                              ; =>This Inner Loop Header: Depth=1
	s_wait_xcnt 0x0
	s_mul_u64 s[0:1], s[6:7], s[2:3]
	s_delay_alu instid0(SALU_CYCLE_1) | instskip(NEXT) | instid1(SALU_CYCLE_1)
	s_lshl_b64 s[0:1], s[0:1], 1
	s_add_nc_u64 s[0:1], s[4:5], s[0:1]
	global_load_u16 v8, v1, s[0:1]
	s_wait_loadcnt 0x0
	s_wait_xcnt 0x0
	v_readfirstlane_b32 s0, v8
	s_and_b32 s0, s0, 0x7fff
	s_delay_alu instid0(SALU_CYCLE_1) | instskip(SKIP_1) | instid1(SALU_CYCLE_1)
	s_cmp_lg_u32 s0, 0
	s_cselect_b32 s0, -1, 0
	s_and_b32 s0, vcc_lo, s0
	s_delay_alu instid0(SALU_CYCLE_1)
	s_and_saveexec_b32 s1, s0
	s_cbranch_execz .LBB170_3
; %bb.5:                                ;   in Loop: Header=BB170_4 Depth=1
	s_lshl_b64 s[18:19], s[2:3], 3
	v_lshlrev_b32_e32 v8, 16, v8
	s_wait_kmcnt 0x0
	s_add_nc_u64 s[20:21], s[8:9], s[18:19]
	s_add_nc_u64 s[18:19], s[10:11], s[18:19]
	s_load_b64 s[20:21], s[20:21], 0x0
	s_wait_kmcnt 0x0
	s_wait_xcnt 0x0
	s_add_nc_u64 s[20:21], s[20:21], s[12:13]
	s_load_b64 s[18:19], s[18:19], 0x0
	v_lshl_add_u64 v[6:7], v[2:3], 1, s[20:21]
	flat_load_u16 v9, v[6:7]
	s_wait_kmcnt 0x0
	s_add_nc_u64 s[18:19], s[18:19], s[14:15]
	s_wait_xcnt 0x0
	v_lshl_add_u64 v[6:7], v[4:5], 1, s[18:19]
	flat_load_u16 v0, v[6:7]
	s_wait_loadcnt_dscnt 0x101
	v_lshlrev_b32_e32 v9, 16, v9
	s_delay_alu instid0(VALU_DEP_1) | instskip(NEXT) | instid1(VALU_DEP_1)
	v_mul_f32_e32 v8, v9, v8
	v_and_b32_e32 v9, 0x7f800000, v8
	s_delay_alu instid0(VALU_DEP_1) | instskip(SKIP_2) | instid1(SALU_CYCLE_1)
	v_cmp_ne_u32_e64 s0, 0x7f800000, v9
                                        ; implicit-def: $vgpr9
	s_wait_xcnt 0x0
	s_and_saveexec_b32 s17, s0
	s_xor_b32 s0, exec_lo, s17
; %bb.6:                                ;   in Loop: Header=BB170_4 Depth=1
	v_bfe_u32 v9, v8, 16, 1
	s_delay_alu instid0(VALU_DEP_1)
	v_add3_u32 v9, v8, v9, 0x7fff
                                        ; implicit-def: $vgpr8
; %bb.7:                                ;   in Loop: Header=BB170_4 Depth=1
	s_and_not1_saveexec_b32 s17, s0
; %bb.8:                                ;   in Loop: Header=BB170_4 Depth=1
	v_and_b32_e32 v9, 0xffff, v8
	v_or_b32_e32 v10, 0x10000, v8
	s_delay_alu instid0(VALU_DEP_2) | instskip(NEXT) | instid1(VALU_DEP_1)
	v_cmp_eq_u32_e64 s0, 0, v9
	v_cndmask_b32_e64 v9, v10, v8, s0
; %bb.9:                                ;   in Loop: Header=BB170_4 Depth=1
	s_or_b32 exec_lo, exec_lo, s17
	s_delay_alu instid0(VALU_DEP_1) | instskip(SKIP_2) | instid1(VALU_DEP_1)
	v_and_b32_e32 v8, 0xffff0000, v9
	s_wait_loadcnt_dscnt 0x0
	v_lshlrev_b32_e32 v0, 16, v0
	v_add_f32_e32 v0, v0, v8
	s_delay_alu instid0(VALU_DEP_1) | instskip(NEXT) | instid1(VALU_DEP_1)
	v_and_b32_e32 v8, 0x7f800000, v0
	v_cmp_ne_u32_e64 s0, 0x7f800000, v8
                                        ; implicit-def: $vgpr8
	s_and_saveexec_b32 s17, s0
	s_delay_alu instid0(SALU_CYCLE_1)
	s_xor_b32 s0, exec_lo, s17
; %bb.10:                               ;   in Loop: Header=BB170_4 Depth=1
	v_bfe_u32 v8, v0, 16, 1
	s_delay_alu instid0(VALU_DEP_1)
	v_add3_u32 v8, v0, v8, 0x7fff
                                        ; implicit-def: $vgpr0
; %bb.11:                               ;   in Loop: Header=BB170_4 Depth=1
	s_and_not1_saveexec_b32 s17, s0
	s_cbranch_execz .LBB170_2
; %bb.12:                               ;   in Loop: Header=BB170_4 Depth=1
	v_and_b32_e32 v8, 0xffff, v0
	v_or_b32_e32 v9, 0x10000, v0
	s_delay_alu instid0(VALU_DEP_2) | instskip(NEXT) | instid1(VALU_DEP_1)
	v_cmp_eq_u32_e64 s0, 0, v8
	v_cndmask_b32_e64 v8, v9, v0, s0
	s_branch .LBB170_2
.LBB170_13:
	s_endpgm
	.section	.rodata,"a",@progbits
	.p2align	6, 0x0
	.amdhsa_kernel _ZL19rocblas_axpy_kernelIlLi256EfPK16rocblas_bfloat16PKS2_PKPS0_EviT2_lT3_lT_lT4_lSA_li
		.amdhsa_group_segment_fixed_size 0
		.amdhsa_private_segment_fixed_size 0
		.amdhsa_kernarg_size 92
		.amdhsa_user_sgpr_count 2
		.amdhsa_user_sgpr_dispatch_ptr 0
		.amdhsa_user_sgpr_queue_ptr 0
		.amdhsa_user_sgpr_kernarg_segment_ptr 1
		.amdhsa_user_sgpr_dispatch_id 0
		.amdhsa_user_sgpr_kernarg_preload_length 0
		.amdhsa_user_sgpr_kernarg_preload_offset 0
		.amdhsa_user_sgpr_private_segment_size 0
		.amdhsa_wavefront_size32 1
		.amdhsa_uses_dynamic_stack 0
		.amdhsa_enable_private_segment 0
		.amdhsa_system_sgpr_workgroup_id_x 1
		.amdhsa_system_sgpr_workgroup_id_y 0
		.amdhsa_system_sgpr_workgroup_id_z 1
		.amdhsa_system_sgpr_workgroup_info 0
		.amdhsa_system_vgpr_workitem_id 0
		.amdhsa_next_free_vgpr 11
		.amdhsa_next_free_sgpr 24
		.amdhsa_named_barrier_count 0
		.amdhsa_reserve_vcc 1
		.amdhsa_float_round_mode_32 0
		.amdhsa_float_round_mode_16_64 0
		.amdhsa_float_denorm_mode_32 3
		.amdhsa_float_denorm_mode_16_64 3
		.amdhsa_fp16_overflow 0
		.amdhsa_memory_ordered 1
		.amdhsa_forward_progress 1
		.amdhsa_inst_pref_size 6
		.amdhsa_round_robin_scheduling 0
		.amdhsa_exception_fp_ieee_invalid_op 0
		.amdhsa_exception_fp_denorm_src 0
		.amdhsa_exception_fp_ieee_div_zero 0
		.amdhsa_exception_fp_ieee_overflow 0
		.amdhsa_exception_fp_ieee_underflow 0
		.amdhsa_exception_fp_ieee_inexact 0
		.amdhsa_exception_int_div_zero 0
	.end_amdhsa_kernel
	.section	.text._ZL19rocblas_axpy_kernelIlLi256EfPK16rocblas_bfloat16PKS2_PKPS0_EviT2_lT3_lT_lT4_lSA_li,"axG",@progbits,_ZL19rocblas_axpy_kernelIlLi256EfPK16rocblas_bfloat16PKS2_PKPS0_EviT2_lT3_lT_lT4_lSA_li,comdat
.Lfunc_end170:
	.size	_ZL19rocblas_axpy_kernelIlLi256EfPK16rocblas_bfloat16PKS2_PKPS0_EviT2_lT3_lT_lT4_lSA_li, .Lfunc_end170-_ZL19rocblas_axpy_kernelIlLi256EfPK16rocblas_bfloat16PKS2_PKPS0_EviT2_lT3_lT_lT4_lSA_li
                                        ; -- End function
	.set _ZL19rocblas_axpy_kernelIlLi256EfPK16rocblas_bfloat16PKS2_PKPS0_EviT2_lT3_lT_lT4_lSA_li.num_vgpr, 11
	.set _ZL19rocblas_axpy_kernelIlLi256EfPK16rocblas_bfloat16PKS2_PKPS0_EviT2_lT3_lT_lT4_lSA_li.num_agpr, 0
	.set _ZL19rocblas_axpy_kernelIlLi256EfPK16rocblas_bfloat16PKS2_PKPS0_EviT2_lT3_lT_lT4_lSA_li.numbered_sgpr, 24
	.set _ZL19rocblas_axpy_kernelIlLi256EfPK16rocblas_bfloat16PKS2_PKPS0_EviT2_lT3_lT_lT4_lSA_li.num_named_barrier, 0
	.set _ZL19rocblas_axpy_kernelIlLi256EfPK16rocblas_bfloat16PKS2_PKPS0_EviT2_lT3_lT_lT4_lSA_li.private_seg_size, 0
	.set _ZL19rocblas_axpy_kernelIlLi256EfPK16rocblas_bfloat16PKS2_PKPS0_EviT2_lT3_lT_lT4_lSA_li.uses_vcc, 1
	.set _ZL19rocblas_axpy_kernelIlLi256EfPK16rocblas_bfloat16PKS2_PKPS0_EviT2_lT3_lT_lT4_lSA_li.uses_flat_scratch, 0
	.set _ZL19rocblas_axpy_kernelIlLi256EfPK16rocblas_bfloat16PKS2_PKPS0_EviT2_lT3_lT_lT4_lSA_li.has_dyn_sized_stack, 0
	.set _ZL19rocblas_axpy_kernelIlLi256EfPK16rocblas_bfloat16PKS2_PKPS0_EviT2_lT3_lT_lT4_lSA_li.has_recursion, 0
	.set _ZL19rocblas_axpy_kernelIlLi256EfPK16rocblas_bfloat16PKS2_PKPS0_EviT2_lT3_lT_lT4_lSA_li.has_indirect_call, 0
	.section	.AMDGPU.csdata,"",@progbits
; Kernel info:
; codeLenInByte = 684
; TotalNumSgprs: 26
; NumVgprs: 11
; ScratchSize: 0
; MemoryBound: 0
; FloatMode: 240
; IeeeMode: 1
; LDSByteSize: 0 bytes/workgroup (compile time only)
; SGPRBlocks: 0
; VGPRBlocks: 0
; NumSGPRsForWavesPerEU: 26
; NumVGPRsForWavesPerEU: 11
; NamedBarCnt: 0
; Occupancy: 16
; WaveLimiterHint : 1
; COMPUTE_PGM_RSRC2:SCRATCH_EN: 0
; COMPUTE_PGM_RSRC2:USER_SGPR: 2
; COMPUTE_PGM_RSRC2:TRAP_HANDLER: 0
; COMPUTE_PGM_RSRC2:TGID_X_EN: 1
; COMPUTE_PGM_RSRC2:TGID_Y_EN: 0
; COMPUTE_PGM_RSRC2:TGID_Z_EN: 1
; COMPUTE_PGM_RSRC2:TIDIG_COMP_CNT: 0
	.section	.text._ZL19rocblas_axpy_kernelIlLi256Ef16rocblas_bfloat16PKPKS0_PKPS0_EviT2_lT3_lT_lT4_lSA_li,"axG",@progbits,_ZL19rocblas_axpy_kernelIlLi256Ef16rocblas_bfloat16PKPKS0_PKPS0_EviT2_lT3_lT_lT4_lSA_li,comdat
	.globl	_ZL19rocblas_axpy_kernelIlLi256Ef16rocblas_bfloat16PKPKS0_PKPS0_EviT2_lT3_lT_lT4_lSA_li ; -- Begin function _ZL19rocblas_axpy_kernelIlLi256Ef16rocblas_bfloat16PKPKS0_PKPS0_EviT2_lT3_lT_lT4_lSA_li
	.p2align	8
	.type	_ZL19rocblas_axpy_kernelIlLi256Ef16rocblas_bfloat16PKPKS0_PKPS0_EviT2_lT3_lT_lT4_lSA_li,@function
_ZL19rocblas_axpy_kernelIlLi256Ef16rocblas_bfloat16PKPKS0_PKPS0_EviT2_lT3_lT_lT4_lSA_li: ; @_ZL19rocblas_axpy_kernelIlLi256Ef16rocblas_bfloat16PKPKS0_PKPS0_EviT2_lT3_lT_lT4_lSA_li
; %bb.0:
	s_load_b32 s8, s[0:1], 0x50
	s_bfe_u32 s2, ttmp6, 0x40014
	s_lshr_b32 s3, ttmp7, 16
	s_add_co_i32 s2, s2, 1
	s_bfe_u32 s5, ttmp6, 0x40008
	s_mul_i32 s4, s3, s2
	s_getreg_b32 s2, hwreg(HW_REG_IB_STS2, 6, 4)
	s_add_co_i32 s5, s5, s4
	s_cmp_eq_u32 s2, 0
	s_cselect_b32 s9, s3, s5
	s_wait_kmcnt 0x0
	s_cmp_ge_u32 s9, s8
	s_cbranch_scc1 .LBB171_13
; %bb.1:
	s_clause 0x1
	s_load_b128 s[12:15], s[0:1], 0x18
	s_load_b128 s[16:19], s[0:1], 0x38
	s_bfe_u32 s3, ttmp6, 0x4000c
	s_and_b32 s4, ttmp6, 15
	s_add_co_i32 s3, s3, 1
	v_mov_b32_e32 v5, 0
	s_mul_i32 s3, ttmp9, s3
	s_load_b64 s[6:7], s[0:1], 0x0
	s_add_co_i32 s4, s4, s3
	s_cmp_eq_u32 s2, 0
	s_cselect_b32 s2, ttmp9, s4
	s_delay_alu instid0(SALU_CYCLE_1)
	v_lshl_or_b32 v4, s2, 8, v0
	s_clause 0x1
	s_load_b64 s[2:3], s[0:1], 0x10
	s_load_b64 s[4:5], s[0:1], 0x30
	s_wait_kmcnt 0x0
	v_mul_u64_e32 v[0:1], s[14:15], v[4:5]
	v_mul_u64_e32 v[2:3], s[18:19], v[4:5]
	s_and_b32 s0, s7, 0x7fff
	s_delay_alu instid0(SALU_CYCLE_1)
	s_cmp_lg_u32 s0, 0
	s_mov_b32 s0, s6
	s_cselect_b32 s10, -1, 0
	s_ashr_i32 s1, s6, 31
	s_lshl_b32 s11, s7, 16
	v_cmp_gt_i64_e32 vcc_lo, s[0:1], v[4:5]
	s_lshl_b64 s[0:1], s[12:13], 1
	s_lshl_b64 s[6:7], s[16:17], 1
	s_and_b32 s10, vcc_lo, s10
	s_branch .LBB171_4
.LBB171_2:                              ;   in Loop: Header=BB171_4 Depth=1
	s_or_b32 exec_lo, exec_lo, s13
	flat_store_d16_hi_b16 v[4:5], v7
.LBB171_3:                              ;   in Loop: Header=BB171_4 Depth=1
	s_wait_xcnt 0x0
	s_or_b32 exec_lo, exec_lo, s12
	s_add_co_i32 s9, s9, 0x10000
	s_delay_alu instid0(SALU_CYCLE_1)
	s_cmp_lt_u32 s9, s8
	s_cbranch_scc0 .LBB171_13
.LBB171_4:                              ; =>This Inner Loop Header: Depth=1
	s_and_saveexec_b32 s12, s10
	s_cbranch_execz .LBB171_3
; %bb.5:                                ;   in Loop: Header=BB171_4 Depth=1
	s_load_b64 s[14:15], s[2:3], s9 offset:0x0 scale_offset
	s_load_b64 s[16:17], s[4:5], s9 offset:0x0 scale_offset
	s_wait_kmcnt 0x0
	s_add_nc_u64 s[14:15], s[14:15], s[0:1]
	s_delay_alu instid0(VALU_DEP_3) | instid1(SALU_CYCLE_1)
	v_lshl_add_u64 v[4:5], v[0:1], 1, s[14:15]
	s_add_nc_u64 s[14:15], s[16:17], s[6:7]
	flat_load_u16 v7, v[4:5]
	s_wait_xcnt 0x0
	v_lshl_add_u64 v[4:5], v[2:3], 1, s[14:15]
	flat_load_u16 v6, v[4:5]
	s_wait_loadcnt_dscnt 0x101
	v_lshlrev_b32_e32 v7, 16, v7
	s_delay_alu instid0(VALU_DEP_1) | instskip(NEXT) | instid1(VALU_DEP_1)
	v_mul_f32_e32 v7, s11, v7
	v_and_b32_e32 v8, 0x7f800000, v7
	s_delay_alu instid0(VALU_DEP_1) | instskip(SKIP_2) | instid1(SALU_CYCLE_1)
	v_cmp_ne_u32_e32 vcc_lo, 0x7f800000, v8
                                        ; implicit-def: $vgpr8
	s_wait_xcnt 0x0
	s_and_saveexec_b32 s13, vcc_lo
	s_xor_b32 s13, exec_lo, s13
; %bb.6:                                ;   in Loop: Header=BB171_4 Depth=1
	v_bfe_u32 v8, v7, 16, 1
	s_delay_alu instid0(VALU_DEP_1)
	v_add3_u32 v8, v7, v8, 0x7fff
                                        ; implicit-def: $vgpr7
; %bb.7:                                ;   in Loop: Header=BB171_4 Depth=1
	s_and_not1_saveexec_b32 s13, s13
; %bb.8:                                ;   in Loop: Header=BB171_4 Depth=1
	v_and_b32_e32 v8, 0xffff, v7
	v_or_b32_e32 v9, 0x10000, v7
	s_delay_alu instid0(VALU_DEP_2) | instskip(NEXT) | instid1(VALU_DEP_2)
	v_cmp_eq_u32_e32 vcc_lo, 0, v8
	v_cndmask_b32_e32 v8, v9, v7, vcc_lo
; %bb.9:                                ;   in Loop: Header=BB171_4 Depth=1
	s_or_b32 exec_lo, exec_lo, s13
	s_delay_alu instid0(VALU_DEP_1) | instskip(SKIP_2) | instid1(VALU_DEP_1)
	v_and_b32_e32 v7, 0xffff0000, v8
	s_wait_loadcnt_dscnt 0x0
	v_lshlrev_b32_e32 v6, 16, v6
	v_add_f32_e32 v6, v6, v7
	s_delay_alu instid0(VALU_DEP_1) | instskip(NEXT) | instid1(VALU_DEP_1)
	v_and_b32_e32 v7, 0x7f800000, v6
	v_cmp_ne_u32_e32 vcc_lo, 0x7f800000, v7
                                        ; implicit-def: $vgpr7
	s_and_saveexec_b32 s13, vcc_lo
	s_delay_alu instid0(SALU_CYCLE_1)
	s_xor_b32 s13, exec_lo, s13
; %bb.10:                               ;   in Loop: Header=BB171_4 Depth=1
	v_bfe_u32 v7, v6, 16, 1
	s_delay_alu instid0(VALU_DEP_1)
	v_add3_u32 v7, v6, v7, 0x7fff
                                        ; implicit-def: $vgpr6
; %bb.11:                               ;   in Loop: Header=BB171_4 Depth=1
	s_and_not1_saveexec_b32 s13, s13
	s_cbranch_execz .LBB171_2
; %bb.12:                               ;   in Loop: Header=BB171_4 Depth=1
	v_and_b32_e32 v7, 0xffff, v6
	v_or_b32_e32 v8, 0x10000, v6
	s_delay_alu instid0(VALU_DEP_2) | instskip(NEXT) | instid1(VALU_DEP_2)
	v_cmp_eq_u32_e32 vcc_lo, 0, v7
	v_cndmask_b32_e32 v7, v8, v6, vcc_lo
	s_branch .LBB171_2
.LBB171_13:
	s_endpgm
	.section	.rodata,"a",@progbits
	.p2align	6, 0x0
	.amdhsa_kernel _ZL19rocblas_axpy_kernelIlLi256Ef16rocblas_bfloat16PKPKS0_PKPS0_EviT2_lT3_lT_lT4_lSA_li
		.amdhsa_group_segment_fixed_size 0
		.amdhsa_private_segment_fixed_size 0
		.amdhsa_kernarg_size 84
		.amdhsa_user_sgpr_count 2
		.amdhsa_user_sgpr_dispatch_ptr 0
		.amdhsa_user_sgpr_queue_ptr 0
		.amdhsa_user_sgpr_kernarg_segment_ptr 1
		.amdhsa_user_sgpr_dispatch_id 0
		.amdhsa_user_sgpr_kernarg_preload_length 0
		.amdhsa_user_sgpr_kernarg_preload_offset 0
		.amdhsa_user_sgpr_private_segment_size 0
		.amdhsa_wavefront_size32 1
		.amdhsa_uses_dynamic_stack 0
		.amdhsa_enable_private_segment 0
		.amdhsa_system_sgpr_workgroup_id_x 1
		.amdhsa_system_sgpr_workgroup_id_y 0
		.amdhsa_system_sgpr_workgroup_id_z 1
		.amdhsa_system_sgpr_workgroup_info 0
		.amdhsa_system_vgpr_workitem_id 0
		.amdhsa_next_free_vgpr 10
		.amdhsa_next_free_sgpr 20
		.amdhsa_named_barrier_count 0
		.amdhsa_reserve_vcc 1
		.amdhsa_float_round_mode_32 0
		.amdhsa_float_round_mode_16_64 0
		.amdhsa_float_denorm_mode_32 3
		.amdhsa_float_denorm_mode_16_64 3
		.amdhsa_fp16_overflow 0
		.amdhsa_memory_ordered 1
		.amdhsa_forward_progress 1
		.amdhsa_inst_pref_size 5
		.amdhsa_round_robin_scheduling 0
		.amdhsa_exception_fp_ieee_invalid_op 0
		.amdhsa_exception_fp_denorm_src 0
		.amdhsa_exception_fp_ieee_div_zero 0
		.amdhsa_exception_fp_ieee_overflow 0
		.amdhsa_exception_fp_ieee_underflow 0
		.amdhsa_exception_fp_ieee_inexact 0
		.amdhsa_exception_int_div_zero 0
	.end_amdhsa_kernel
	.section	.text._ZL19rocblas_axpy_kernelIlLi256Ef16rocblas_bfloat16PKPKS0_PKPS0_EviT2_lT3_lT_lT4_lSA_li,"axG",@progbits,_ZL19rocblas_axpy_kernelIlLi256Ef16rocblas_bfloat16PKPKS0_PKPS0_EviT2_lT3_lT_lT4_lSA_li,comdat
.Lfunc_end171:
	.size	_ZL19rocblas_axpy_kernelIlLi256Ef16rocblas_bfloat16PKPKS0_PKPS0_EviT2_lT3_lT_lT4_lSA_li, .Lfunc_end171-_ZL19rocblas_axpy_kernelIlLi256Ef16rocblas_bfloat16PKPKS0_PKPS0_EviT2_lT3_lT_lT4_lSA_li
                                        ; -- End function
	.set _ZL19rocblas_axpy_kernelIlLi256Ef16rocblas_bfloat16PKPKS0_PKPS0_EviT2_lT3_lT_lT4_lSA_li.num_vgpr, 10
	.set _ZL19rocblas_axpy_kernelIlLi256Ef16rocblas_bfloat16PKPKS0_PKPS0_EviT2_lT3_lT_lT4_lSA_li.num_agpr, 0
	.set _ZL19rocblas_axpy_kernelIlLi256Ef16rocblas_bfloat16PKPKS0_PKPS0_EviT2_lT3_lT_lT4_lSA_li.numbered_sgpr, 20
	.set _ZL19rocblas_axpy_kernelIlLi256Ef16rocblas_bfloat16PKPKS0_PKPS0_EviT2_lT3_lT_lT4_lSA_li.num_named_barrier, 0
	.set _ZL19rocblas_axpy_kernelIlLi256Ef16rocblas_bfloat16PKPKS0_PKPS0_EviT2_lT3_lT_lT4_lSA_li.private_seg_size, 0
	.set _ZL19rocblas_axpy_kernelIlLi256Ef16rocblas_bfloat16PKPKS0_PKPS0_EviT2_lT3_lT_lT4_lSA_li.uses_vcc, 1
	.set _ZL19rocblas_axpy_kernelIlLi256Ef16rocblas_bfloat16PKPKS0_PKPS0_EviT2_lT3_lT_lT4_lSA_li.uses_flat_scratch, 0
	.set _ZL19rocblas_axpy_kernelIlLi256Ef16rocblas_bfloat16PKPKS0_PKPS0_EviT2_lT3_lT_lT4_lSA_li.has_dyn_sized_stack, 0
	.set _ZL19rocblas_axpy_kernelIlLi256Ef16rocblas_bfloat16PKPKS0_PKPS0_EviT2_lT3_lT_lT4_lSA_li.has_recursion, 0
	.set _ZL19rocblas_axpy_kernelIlLi256Ef16rocblas_bfloat16PKPKS0_PKPS0_EviT2_lT3_lT_lT4_lSA_li.has_indirect_call, 0
	.section	.AMDGPU.csdata,"",@progbits
; Kernel info:
; codeLenInByte = 584
; TotalNumSgprs: 22
; NumVgprs: 10
; ScratchSize: 0
; MemoryBound: 0
; FloatMode: 240
; IeeeMode: 1
; LDSByteSize: 0 bytes/workgroup (compile time only)
; SGPRBlocks: 0
; VGPRBlocks: 0
; NumSGPRsForWavesPerEU: 22
; NumVGPRsForWavesPerEU: 10
; NamedBarCnt: 0
; Occupancy: 16
; WaveLimiterHint : 1
; COMPUTE_PGM_RSRC2:SCRATCH_EN: 0
; COMPUTE_PGM_RSRC2:USER_SGPR: 2
; COMPUTE_PGM_RSRC2:TRAP_HANDLER: 0
; COMPUTE_PGM_RSRC2:TGID_X_EN: 1
; COMPUTE_PGM_RSRC2:TGID_Y_EN: 0
; COMPUTE_PGM_RSRC2:TGID_Z_EN: 1
; COMPUTE_PGM_RSRC2:TIDIG_COMP_CNT: 0
	.section	.text._ZL26rocblas_haxpy_mod_8_kernelILi256EPKfPKPK16rocblas_bfloat16PKPS2_EviT0_lT1_llT2_lli,"axG",@progbits,_ZL26rocblas_haxpy_mod_8_kernelILi256EPKfPKPK16rocblas_bfloat16PKPS2_EviT0_lT1_llT2_lli,comdat
	.globl	_ZL26rocblas_haxpy_mod_8_kernelILi256EPKfPKPK16rocblas_bfloat16PKPS2_EviT0_lT1_llT2_lli ; -- Begin function _ZL26rocblas_haxpy_mod_8_kernelILi256EPKfPKPK16rocblas_bfloat16PKPS2_EviT0_lT1_llT2_lli
	.p2align	8
	.type	_ZL26rocblas_haxpy_mod_8_kernelILi256EPKfPKPK16rocblas_bfloat16PKPS2_EviT0_lT1_llT2_lli,@function
_ZL26rocblas_haxpy_mod_8_kernelILi256EPKfPKPK16rocblas_bfloat16PKPS2_EviT0_lT1_llT2_lli: ; @_ZL26rocblas_haxpy_mod_8_kernelILi256EPKfPKPK16rocblas_bfloat16PKPS2_EviT0_lT1_llT2_lli
; %bb.0:
	s_load_b32 s18, s[0:1], 0x48
	s_bfe_u32 s2, ttmp6, 0x40014
	s_lshr_b32 s3, ttmp7, 16
	s_add_co_i32 s2, s2, 1
	s_bfe_u32 s4, ttmp6, 0x40008
	s_mul_i32 s2, s3, s2
	s_getreg_b32 s16, hwreg(HW_REG_IB_STS2, 6, 4)
	s_add_co_i32 s4, s4, s2
	s_cmp_eq_u32 s16, 0
	s_cselect_b32 s2, s3, s4
	s_mov_b32 s3, 0
	s_wait_kmcnt 0x0
	s_cmp_ge_u32 s2, s18
	s_cbranch_scc1 .LBB172_13
; %bb.1:
	s_clause 0x2
	s_load_b32 s20, s[0:1], 0x0
	s_load_b256 s[4:11], s[0:1], 0x8
	s_load_b128 s[12:15], s[0:1], 0x30
	s_bfe_u32 s17, ttmp6, 0x4000c
	s_wait_xcnt 0x0
	s_and_b32 s0, ttmp6, 15
	s_add_co_i32 s17, s17, 1
	v_mov_b32_e32 v1, 0
	s_mul_i32 s1, ttmp9, s17
	s_delay_alu instid0(SALU_CYCLE_1)
	s_add_co_i32 s0, s0, s1
	s_wait_kmcnt 0x0
	s_ashr_i32 s21, s20, 31
	s_cmp_eq_u32 s16, 0
	s_cselect_b32 s0, ttmp9, s0
	s_lshl_b64 s[10:11], s[10:11], 1
	v_lshl_or_b32 v0, s0, 8, v0
	s_lshl_b64 s[14:15], s[14:15], 1
	s_delay_alu instid0(VALU_DEP_1)
	v_cmp_gt_i64_e32 vcc_lo, s[20:21], v[0:1]
	s_branch .LBB172_4
.LBB172_2:                              ;   in Loop: Header=BB172_4 Depth=1
	s_or_b32 exec_lo, exec_lo, s16
	flat_store_d16_hi_b16 v[2:3], v5
.LBB172_3:                              ;   in Loop: Header=BB172_4 Depth=1
	s_wait_xcnt 0x0
	s_or_b32 exec_lo, exec_lo, s1
	s_add_co_i32 s2, s2, 0x10000
	s_delay_alu instid0(SALU_CYCLE_1)
	s_cmp_lt_u32 s2, s18
	s_cbranch_scc0 .LBB172_13
.LBB172_4:                              ; =>This Inner Loop Header: Depth=1
	s_mul_u64 s[0:1], s[6:7], s[2:3]
	s_delay_alu instid0(SALU_CYCLE_1) | instskip(NEXT) | instid1(SALU_CYCLE_1)
	s_lshl_b64 s[0:1], s[0:1], 2
	s_add_nc_u64 s[0:1], s[4:5], s[0:1]
	s_load_b32 s0, s[0:1], 0x0
	s_wait_kmcnt 0x0
	s_cmp_neq_f32 s0, 0
	s_wait_xcnt 0x0
	s_cselect_b32 s1, -1, 0
	s_delay_alu instid0(SALU_CYCLE_1) | instskip(NEXT) | instid1(SALU_CYCLE_1)
	s_and_b32 s16, vcc_lo, s1
	s_and_saveexec_b32 s1, s16
	s_cbranch_execz .LBB172_3
; %bb.5:                                ;   in Loop: Header=BB172_4 Depth=1
	s_lshl_b64 s[16:17], s[2:3], 3
                                        ; implicit-def: $vgpr4
	s_delay_alu instid0(SALU_CYCLE_1) | instskip(SKIP_4) | instid1(SALU_CYCLE_1)
	s_add_nc_u64 s[20:21], s[8:9], s[16:17]
	s_load_b64 s[20:21], s[20:21], 0x0
	s_wait_kmcnt 0x0
	s_wait_xcnt 0x0
	s_add_nc_u64 s[20:21], s[20:21], s[10:11]
	v_lshl_add_u64 v[2:3], v[0:1], 1, s[20:21]
	flat_load_u16 v2, v[2:3]
	s_wait_loadcnt_dscnt 0x0
	s_wait_xcnt 0x0
	v_lshlrev_b32_e32 v2, 16, v2
	s_delay_alu instid0(VALU_DEP_1) | instskip(NEXT) | instid1(VALU_DEP_1)
	v_mul_f32_e32 v2, s0, v2
	v_and_b32_e32 v3, 0x7f800000, v2
	s_delay_alu instid0(VALU_DEP_1) | instskip(SKIP_1) | instid1(SALU_CYCLE_1)
	v_cmp_ne_u32_e64 s0, 0x7f800000, v3
	s_and_saveexec_b32 s19, s0
	s_xor_b32 s0, exec_lo, s19
; %bb.6:                                ;   in Loop: Header=BB172_4 Depth=1
	v_bfe_u32 v3, v2, 16, 1
	s_delay_alu instid0(VALU_DEP_1)
	v_add3_u32 v4, v2, v3, 0x7fff
                                        ; implicit-def: $vgpr2
; %bb.7:                                ;   in Loop: Header=BB172_4 Depth=1
	s_or_saveexec_b32 s19, s0
	s_add_nc_u64 s[16:17], s[12:13], s[16:17]
	s_load_b64 s[16:17], s[16:17], 0x0
	s_xor_b32 exec_lo, exec_lo, s19
; %bb.8:                                ;   in Loop: Header=BB172_4 Depth=1
	v_and_b32_e32 v3, 0xffff, v2
	v_or_b32_e32 v4, 0x10000, v2
	s_delay_alu instid0(VALU_DEP_2) | instskip(NEXT) | instid1(VALU_DEP_1)
	v_cmp_eq_u32_e64 s0, 0, v3
	v_cndmask_b32_e64 v4, v4, v2, s0
; %bb.9:                                ;   in Loop: Header=BB172_4 Depth=1
	s_or_b32 exec_lo, exec_lo, s19
	s_wait_kmcnt 0x0
	s_wait_xcnt 0x0
	s_add_nc_u64 s[16:17], s[16:17], s[14:15]
	v_and_b32_e32 v4, 0xffff0000, v4
	v_lshl_add_u64 v[2:3], v[0:1], 1, s[16:17]
	flat_load_u16 v5, v[2:3]
	s_wait_loadcnt_dscnt 0x0
	v_lshlrev_b32_e32 v5, 16, v5
	s_delay_alu instid0(VALU_DEP_1) | instskip(NEXT) | instid1(VALU_DEP_1)
	v_add_f32_e32 v4, v4, v5
	v_and_b32_e32 v5, 0x7f800000, v4
	s_delay_alu instid0(VALU_DEP_1) | instskip(SKIP_2) | instid1(SALU_CYCLE_1)
	v_cmp_ne_u32_e64 s0, 0x7f800000, v5
                                        ; implicit-def: $vgpr5
	s_wait_xcnt 0x0
	s_and_saveexec_b32 s16, s0
	s_xor_b32 s0, exec_lo, s16
; %bb.10:                               ;   in Loop: Header=BB172_4 Depth=1
	v_bfe_u32 v5, v4, 16, 1
	s_delay_alu instid0(VALU_DEP_1)
	v_add3_u32 v5, v4, v5, 0x7fff
                                        ; implicit-def: $vgpr4
; %bb.11:                               ;   in Loop: Header=BB172_4 Depth=1
	s_and_not1_saveexec_b32 s16, s0
	s_cbranch_execz .LBB172_2
; %bb.12:                               ;   in Loop: Header=BB172_4 Depth=1
	v_and_b32_e32 v5, 0xffff, v4
	v_or_b32_e32 v6, 0x10000, v4
	s_delay_alu instid0(VALU_DEP_2) | instskip(NEXT) | instid1(VALU_DEP_1)
	v_cmp_eq_u32_e64 s0, 0, v5
	v_cndmask_b32_e64 v5, v6, v4, s0
	s_branch .LBB172_2
.LBB172_13:
	s_endpgm
	.section	.rodata,"a",@progbits
	.p2align	6, 0x0
	.amdhsa_kernel _ZL26rocblas_haxpy_mod_8_kernelILi256EPKfPKPK16rocblas_bfloat16PKPS2_EviT0_lT1_llT2_lli
		.amdhsa_group_segment_fixed_size 0
		.amdhsa_private_segment_fixed_size 0
		.amdhsa_kernarg_size 76
		.amdhsa_user_sgpr_count 2
		.amdhsa_user_sgpr_dispatch_ptr 0
		.amdhsa_user_sgpr_queue_ptr 0
		.amdhsa_user_sgpr_kernarg_segment_ptr 1
		.amdhsa_user_sgpr_dispatch_id 0
		.amdhsa_user_sgpr_kernarg_preload_length 0
		.amdhsa_user_sgpr_kernarg_preload_offset 0
		.amdhsa_user_sgpr_private_segment_size 0
		.amdhsa_wavefront_size32 1
		.amdhsa_uses_dynamic_stack 0
		.amdhsa_enable_private_segment 0
		.amdhsa_system_sgpr_workgroup_id_x 1
		.amdhsa_system_sgpr_workgroup_id_y 0
		.amdhsa_system_sgpr_workgroup_id_z 1
		.amdhsa_system_sgpr_workgroup_info 0
		.amdhsa_system_vgpr_workitem_id 0
		.amdhsa_next_free_vgpr 7
		.amdhsa_next_free_sgpr 22
		.amdhsa_named_barrier_count 0
		.amdhsa_reserve_vcc 1
		.amdhsa_float_round_mode_32 0
		.amdhsa_float_round_mode_16_64 0
		.amdhsa_float_denorm_mode_32 3
		.amdhsa_float_denorm_mode_16_64 3
		.amdhsa_fp16_overflow 0
		.amdhsa_memory_ordered 1
		.amdhsa_forward_progress 1
		.amdhsa_inst_pref_size 5
		.amdhsa_round_robin_scheduling 0
		.amdhsa_exception_fp_ieee_invalid_op 0
		.amdhsa_exception_fp_denorm_src 0
		.amdhsa_exception_fp_ieee_div_zero 0
		.amdhsa_exception_fp_ieee_overflow 0
		.amdhsa_exception_fp_ieee_underflow 0
		.amdhsa_exception_fp_ieee_inexact 0
		.amdhsa_exception_int_div_zero 0
	.end_amdhsa_kernel
	.section	.text._ZL26rocblas_haxpy_mod_8_kernelILi256EPKfPKPK16rocblas_bfloat16PKPS2_EviT0_lT1_llT2_lli,"axG",@progbits,_ZL26rocblas_haxpy_mod_8_kernelILi256EPKfPKPK16rocblas_bfloat16PKPS2_EviT0_lT1_llT2_lli,comdat
.Lfunc_end172:
	.size	_ZL26rocblas_haxpy_mod_8_kernelILi256EPKfPKPK16rocblas_bfloat16PKPS2_EviT0_lT1_llT2_lli, .Lfunc_end172-_ZL26rocblas_haxpy_mod_8_kernelILi256EPKfPKPK16rocblas_bfloat16PKPS2_EviT0_lT1_llT2_lli
                                        ; -- End function
	.set _ZL26rocblas_haxpy_mod_8_kernelILi256EPKfPKPK16rocblas_bfloat16PKPS2_EviT0_lT1_llT2_lli.num_vgpr, 7
	.set _ZL26rocblas_haxpy_mod_8_kernelILi256EPKfPKPK16rocblas_bfloat16PKPS2_EviT0_lT1_llT2_lli.num_agpr, 0
	.set _ZL26rocblas_haxpy_mod_8_kernelILi256EPKfPKPK16rocblas_bfloat16PKPS2_EviT0_lT1_llT2_lli.numbered_sgpr, 22
	.set _ZL26rocblas_haxpy_mod_8_kernelILi256EPKfPKPK16rocblas_bfloat16PKPS2_EviT0_lT1_llT2_lli.num_named_barrier, 0
	.set _ZL26rocblas_haxpy_mod_8_kernelILi256EPKfPKPK16rocblas_bfloat16PKPS2_EviT0_lT1_llT2_lli.private_seg_size, 0
	.set _ZL26rocblas_haxpy_mod_8_kernelILi256EPKfPKPK16rocblas_bfloat16PKPS2_EviT0_lT1_llT2_lli.uses_vcc, 1
	.set _ZL26rocblas_haxpy_mod_8_kernelILi256EPKfPKPK16rocblas_bfloat16PKPS2_EviT0_lT1_llT2_lli.uses_flat_scratch, 0
	.set _ZL26rocblas_haxpy_mod_8_kernelILi256EPKfPKPK16rocblas_bfloat16PKPS2_EviT0_lT1_llT2_lli.has_dyn_sized_stack, 0
	.set _ZL26rocblas_haxpy_mod_8_kernelILi256EPKfPKPK16rocblas_bfloat16PKPS2_EviT0_lT1_llT2_lli.has_recursion, 0
	.set _ZL26rocblas_haxpy_mod_8_kernelILi256EPKfPKPK16rocblas_bfloat16PKPS2_EviT0_lT1_llT2_lli.has_indirect_call, 0
	.section	.AMDGPU.csdata,"",@progbits
; Kernel info:
; codeLenInByte = 632
; TotalNumSgprs: 24
; NumVgprs: 7
; ScratchSize: 0
; MemoryBound: 0
; FloatMode: 240
; IeeeMode: 1
; LDSByteSize: 0 bytes/workgroup (compile time only)
; SGPRBlocks: 0
; VGPRBlocks: 0
; NumSGPRsForWavesPerEU: 24
; NumVGPRsForWavesPerEU: 7
; NamedBarCnt: 0
; Occupancy: 16
; WaveLimiterHint : 1
; COMPUTE_PGM_RSRC2:SCRATCH_EN: 0
; COMPUTE_PGM_RSRC2:USER_SGPR: 2
; COMPUTE_PGM_RSRC2:TRAP_HANDLER: 0
; COMPUTE_PGM_RSRC2:TGID_X_EN: 1
; COMPUTE_PGM_RSRC2:TGID_Y_EN: 0
; COMPUTE_PGM_RSRC2:TGID_Z_EN: 1
; COMPUTE_PGM_RSRC2:TIDIG_COMP_CNT: 0
	.section	.text._ZL26rocblas_haxpy_mod_8_kernelILi256EfPKPK16rocblas_bfloat16PKPS0_EviT0_lT1_llT2_lli,"axG",@progbits,_ZL26rocblas_haxpy_mod_8_kernelILi256EfPKPK16rocblas_bfloat16PKPS0_EviT0_lT1_llT2_lli,comdat
	.globl	_ZL26rocblas_haxpy_mod_8_kernelILi256EfPKPK16rocblas_bfloat16PKPS0_EviT0_lT1_llT2_lli ; -- Begin function _ZL26rocblas_haxpy_mod_8_kernelILi256EfPKPK16rocblas_bfloat16PKPS0_EviT0_lT1_llT2_lli
	.p2align	8
	.type	_ZL26rocblas_haxpy_mod_8_kernelILi256EfPKPK16rocblas_bfloat16PKPS0_EviT0_lT1_llT2_lli,@function
_ZL26rocblas_haxpy_mod_8_kernelILi256EfPKPK16rocblas_bfloat16PKPS0_EviT0_lT1_llT2_lli: ; @_ZL26rocblas_haxpy_mod_8_kernelILi256EfPKPK16rocblas_bfloat16PKPS0_EviT0_lT1_llT2_lli
; %bb.0:
	s_load_b32 s12, s[0:1], 0x40
	s_bfe_u32 s2, ttmp6, 0x40014
	s_lshr_b32 s3, ttmp7, 16
	s_add_co_i32 s2, s2, 1
	s_bfe_u32 s4, ttmp6, 0x40008
	s_mul_i32 s2, s3, s2
	s_getreg_b32 s14, hwreg(HW_REG_IB_STS2, 6, 4)
	s_add_co_i32 s4, s4, s2
	s_cmp_eq_u32 s14, 0
	s_cselect_b32 s13, s3, s4
	s_wait_kmcnt 0x0
	s_cmp_ge_u32 s13, s12
	s_cbranch_scc1 .LBB173_13
; %bb.1:
	s_clause 0x1
	s_load_b64 s[2:3], s[0:1], 0x0
	s_load_b128 s[4:7], s[0:1], 0x10
	s_bfe_u32 s8, ttmp6, 0x4000c
	s_and_b32 s15, ttmp6, 15
	s_add_co_i32 s8, s8, 1
	v_mov_b32_e32 v1, 0
	s_mul_i32 s16, ttmp9, s8
	s_load_b128 s[8:11], s[0:1], 0x28
	s_add_co_i32 s15, s15, s16
	s_cmp_eq_u32 s14, 0
	s_wait_xcnt 0x0
	s_cselect_b32 s0, ttmp9, s15
	s_delay_alu instid0(SALU_CYCLE_1)
	v_lshl_or_b32 v0, s0, 8, v0
	s_wait_kmcnt 0x0
	s_cmp_neq_f32 s3, 0
	s_mov_b32 s0, s2
	s_cselect_b32 s14, -1, 0
	s_ashr_i32 s1, s2, 31
	s_delay_alu instid0(SALU_CYCLE_1)
	v_cmp_gt_i64_e32 vcc_lo, s[0:1], v[0:1]
	s_lshl_b64 s[0:1], s[6:7], 1
	s_lshl_b64 s[6:7], s[10:11], 1
	s_and_b32 s2, s14, vcc_lo
	s_branch .LBB173_4
.LBB173_2:                              ;   in Loop: Header=BB173_4 Depth=1
	s_or_b32 exec_lo, exec_lo, s10
	flat_store_d16_hi_b16 v[2:3], v5
.LBB173_3:                              ;   in Loop: Header=BB173_4 Depth=1
	s_wait_xcnt 0x0
	s_or_b32 exec_lo, exec_lo, s14
	s_add_co_i32 s13, s13, 0x10000
	s_delay_alu instid0(SALU_CYCLE_1)
	s_cmp_lt_u32 s13, s12
	s_cbranch_scc0 .LBB173_13
.LBB173_4:                              ; =>This Inner Loop Header: Depth=1
	s_and_saveexec_b32 s14, s2
	s_cbranch_execz .LBB173_3
; %bb.5:                                ;   in Loop: Header=BB173_4 Depth=1
	s_load_b64 s[10:11], s[4:5], s13 offset:0x0 scale_offset
                                        ; implicit-def: $vgpr4
	s_wait_kmcnt 0x0
	s_add_nc_u64 s[10:11], s[10:11], s[0:1]
	s_delay_alu instid0(SALU_CYCLE_1)
	v_lshl_add_u64 v[2:3], v[0:1], 1, s[10:11]
	s_mov_b32 s10, exec_lo
	flat_load_u16 v2, v[2:3]
	s_wait_loadcnt_dscnt 0x0
	s_wait_xcnt 0x0
	v_lshlrev_b32_e32 v2, 16, v2
	s_delay_alu instid0(VALU_DEP_1) | instskip(NEXT) | instid1(VALU_DEP_1)
	v_mul_f32_e32 v2, s3, v2
	v_and_b32_e32 v3, 0x7f800000, v2
	s_delay_alu instid0(VALU_DEP_1)
	v_cmpx_ne_u32_e32 0x7f800000, v3
	s_xor_b32 s10, exec_lo, s10
; %bb.6:                                ;   in Loop: Header=BB173_4 Depth=1
	v_bfe_u32 v3, v2, 16, 1
	s_delay_alu instid0(VALU_DEP_1)
	v_add3_u32 v4, v2, v3, 0x7fff
                                        ; implicit-def: $vgpr2
; %bb.7:                                ;   in Loop: Header=BB173_4 Depth=1
	s_or_saveexec_b32 s15, s10
	s_load_b64 s[10:11], s[8:9], s13 offset:0x0 scale_offset
	s_xor_b32 exec_lo, exec_lo, s15
; %bb.8:                                ;   in Loop: Header=BB173_4 Depth=1
	v_and_b32_e32 v3, 0xffff, v2
	v_or_b32_e32 v4, 0x10000, v2
	s_delay_alu instid0(VALU_DEP_2) | instskip(NEXT) | instid1(VALU_DEP_2)
	v_cmp_eq_u32_e32 vcc_lo, 0, v3
	v_cndmask_b32_e32 v4, v4, v2, vcc_lo
; %bb.9:                                ;   in Loop: Header=BB173_4 Depth=1
	s_or_b32 exec_lo, exec_lo, s15
	s_wait_kmcnt 0x0
	s_add_nc_u64 s[10:11], s[10:11], s[6:7]
	s_delay_alu instid0(VALU_DEP_1) | instskip(SKIP_4) | instid1(VALU_DEP_1)
	v_and_b32_e32 v4, 0xffff0000, v4
	v_lshl_add_u64 v[2:3], v[0:1], 1, s[10:11]
	flat_load_u16 v5, v[2:3]
	s_wait_loadcnt_dscnt 0x0
	v_lshlrev_b32_e32 v5, 16, v5
	v_add_f32_e32 v4, v4, v5
	s_delay_alu instid0(VALU_DEP_1) | instskip(NEXT) | instid1(VALU_DEP_1)
	v_and_b32_e32 v5, 0x7f800000, v4
	v_cmp_ne_u32_e32 vcc_lo, 0x7f800000, v5
                                        ; implicit-def: $vgpr5
	s_wait_xcnt 0x0
	s_and_saveexec_b32 s10, vcc_lo
	s_delay_alu instid0(SALU_CYCLE_1)
	s_xor_b32 s10, exec_lo, s10
; %bb.10:                               ;   in Loop: Header=BB173_4 Depth=1
	v_bfe_u32 v5, v4, 16, 1
	s_delay_alu instid0(VALU_DEP_1)
	v_add3_u32 v5, v4, v5, 0x7fff
                                        ; implicit-def: $vgpr4
; %bb.11:                               ;   in Loop: Header=BB173_4 Depth=1
	s_and_not1_saveexec_b32 s10, s10
	s_cbranch_execz .LBB173_2
; %bb.12:                               ;   in Loop: Header=BB173_4 Depth=1
	v_and_b32_e32 v5, 0xffff, v4
	v_or_b32_e32 v6, 0x10000, v4
	s_delay_alu instid0(VALU_DEP_2) | instskip(NEXT) | instid1(VALU_DEP_2)
	v_cmp_eq_u32_e32 vcc_lo, 0, v5
	v_cndmask_b32_e32 v5, v6, v4, vcc_lo
	s_branch .LBB173_2
.LBB173_13:
	s_endpgm
	.section	.rodata,"a",@progbits
	.p2align	6, 0x0
	.amdhsa_kernel _ZL26rocblas_haxpy_mod_8_kernelILi256EfPKPK16rocblas_bfloat16PKPS0_EviT0_lT1_llT2_lli
		.amdhsa_group_segment_fixed_size 0
		.amdhsa_private_segment_fixed_size 0
		.amdhsa_kernarg_size 68
		.amdhsa_user_sgpr_count 2
		.amdhsa_user_sgpr_dispatch_ptr 0
		.amdhsa_user_sgpr_queue_ptr 0
		.amdhsa_user_sgpr_kernarg_segment_ptr 1
		.amdhsa_user_sgpr_dispatch_id 0
		.amdhsa_user_sgpr_kernarg_preload_length 0
		.amdhsa_user_sgpr_kernarg_preload_offset 0
		.amdhsa_user_sgpr_private_segment_size 0
		.amdhsa_wavefront_size32 1
		.amdhsa_uses_dynamic_stack 0
		.amdhsa_enable_private_segment 0
		.amdhsa_system_sgpr_workgroup_id_x 1
		.amdhsa_system_sgpr_workgroup_id_y 0
		.amdhsa_system_sgpr_workgroup_id_z 1
		.amdhsa_system_sgpr_workgroup_info 0
		.amdhsa_system_vgpr_workitem_id 0
		.amdhsa_next_free_vgpr 7
		.amdhsa_next_free_sgpr 17
		.amdhsa_named_barrier_count 0
		.amdhsa_reserve_vcc 1
		.amdhsa_float_round_mode_32 0
		.amdhsa_float_round_mode_16_64 0
		.amdhsa_float_denorm_mode_32 3
		.amdhsa_float_denorm_mode_16_64 3
		.amdhsa_fp16_overflow 0
		.amdhsa_memory_ordered 1
		.amdhsa_forward_progress 1
		.amdhsa_inst_pref_size 5
		.amdhsa_round_robin_scheduling 0
		.amdhsa_exception_fp_ieee_invalid_op 0
		.amdhsa_exception_fp_denorm_src 0
		.amdhsa_exception_fp_ieee_div_zero 0
		.amdhsa_exception_fp_ieee_overflow 0
		.amdhsa_exception_fp_ieee_underflow 0
		.amdhsa_exception_fp_ieee_inexact 0
		.amdhsa_exception_int_div_zero 0
	.end_amdhsa_kernel
	.section	.text._ZL26rocblas_haxpy_mod_8_kernelILi256EfPKPK16rocblas_bfloat16PKPS0_EviT0_lT1_llT2_lli,"axG",@progbits,_ZL26rocblas_haxpy_mod_8_kernelILi256EfPKPK16rocblas_bfloat16PKPS0_EviT0_lT1_llT2_lli,comdat
.Lfunc_end173:
	.size	_ZL26rocblas_haxpy_mod_8_kernelILi256EfPKPK16rocblas_bfloat16PKPS0_EviT0_lT1_llT2_lli, .Lfunc_end173-_ZL26rocblas_haxpy_mod_8_kernelILi256EfPKPK16rocblas_bfloat16PKPS0_EviT0_lT1_llT2_lli
                                        ; -- End function
	.set _ZL26rocblas_haxpy_mod_8_kernelILi256EfPKPK16rocblas_bfloat16PKPS0_EviT0_lT1_llT2_lli.num_vgpr, 7
	.set _ZL26rocblas_haxpy_mod_8_kernelILi256EfPKPK16rocblas_bfloat16PKPS0_EviT0_lT1_llT2_lli.num_agpr, 0
	.set _ZL26rocblas_haxpy_mod_8_kernelILi256EfPKPK16rocblas_bfloat16PKPS0_EviT0_lT1_llT2_lli.numbered_sgpr, 17
	.set _ZL26rocblas_haxpy_mod_8_kernelILi256EfPKPK16rocblas_bfloat16PKPS0_EviT0_lT1_llT2_lli.num_named_barrier, 0
	.set _ZL26rocblas_haxpy_mod_8_kernelILi256EfPKPK16rocblas_bfloat16PKPS0_EviT0_lT1_llT2_lli.private_seg_size, 0
	.set _ZL26rocblas_haxpy_mod_8_kernelILi256EfPKPK16rocblas_bfloat16PKPS0_EviT0_lT1_llT2_lli.uses_vcc, 1
	.set _ZL26rocblas_haxpy_mod_8_kernelILi256EfPKPK16rocblas_bfloat16PKPS0_EviT0_lT1_llT2_lli.uses_flat_scratch, 0
	.set _ZL26rocblas_haxpy_mod_8_kernelILi256EfPKPK16rocblas_bfloat16PKPS0_EviT0_lT1_llT2_lli.has_dyn_sized_stack, 0
	.set _ZL26rocblas_haxpy_mod_8_kernelILi256EfPKPK16rocblas_bfloat16PKPS0_EviT0_lT1_llT2_lli.has_recursion, 0
	.set _ZL26rocblas_haxpy_mod_8_kernelILi256EfPKPK16rocblas_bfloat16PKPS0_EviT0_lT1_llT2_lli.has_indirect_call, 0
	.section	.AMDGPU.csdata,"",@progbits
; Kernel info:
; codeLenInByte = 556
; TotalNumSgprs: 19
; NumVgprs: 7
; ScratchSize: 0
; MemoryBound: 0
; FloatMode: 240
; IeeeMode: 1
; LDSByteSize: 0 bytes/workgroup (compile time only)
; SGPRBlocks: 0
; VGPRBlocks: 0
; NumSGPRsForWavesPerEU: 19
; NumVGPRsForWavesPerEU: 7
; NamedBarCnt: 0
; Occupancy: 16
; WaveLimiterHint : 1
; COMPUTE_PGM_RSRC2:SCRATCH_EN: 0
; COMPUTE_PGM_RSRC2:USER_SGPR: 2
; COMPUTE_PGM_RSRC2:TRAP_HANDLER: 0
; COMPUTE_PGM_RSRC2:TGID_X_EN: 1
; COMPUTE_PGM_RSRC2:TGID_Y_EN: 0
; COMPUTE_PGM_RSRC2:TGID_Z_EN: 1
; COMPUTE_PGM_RSRC2:TIDIG_COMP_CNT: 0
	.section	.text._ZL22rocblas_saxpy_2_kernelILi256EfPKfPKPK16rocblas_bfloat16PKPS2_EviT1_lT2_llT3_lli,"axG",@progbits,_ZL22rocblas_saxpy_2_kernelILi256EfPKfPKPK16rocblas_bfloat16PKPS2_EviT1_lT2_llT3_lli,comdat
	.globl	_ZL22rocblas_saxpy_2_kernelILi256EfPKfPKPK16rocblas_bfloat16PKPS2_EviT1_lT2_llT3_lli ; -- Begin function _ZL22rocblas_saxpy_2_kernelILi256EfPKfPKPK16rocblas_bfloat16PKPS2_EviT1_lT2_llT3_lli
	.p2align	8
	.type	_ZL22rocblas_saxpy_2_kernelILi256EfPKfPKPK16rocblas_bfloat16PKPS2_EviT1_lT2_llT3_lli,@function
_ZL22rocblas_saxpy_2_kernelILi256EfPKfPKPK16rocblas_bfloat16PKPS2_EviT1_lT2_llT3_lli: ; @_ZL22rocblas_saxpy_2_kernelILi256EfPKfPKPK16rocblas_bfloat16PKPS2_EviT1_lT2_llT3_lli
; %bb.0:
	s_load_b32 s16, s[0:1], 0x48
	s_bfe_u32 s2, ttmp6, 0x40014
	s_lshr_b32 s3, ttmp7, 16
	s_add_co_i32 s2, s2, 1
	s_bfe_u32 s4, ttmp6, 0x40008
	s_mul_i32 s2, s3, s2
	s_getreg_b32 s17, hwreg(HW_REG_IB_STS2, 6, 4)
	s_add_co_i32 s4, s4, s2
	s_cmp_eq_u32 s17, 0
	s_cselect_b32 s2, s3, s4
	s_mov_b32 s3, 0
	s_wait_kmcnt 0x0
	s_cmp_ge_u32 s2, s16
	s_cbranch_scc1 .LBB174_33
; %bb.1:
	s_clause 0x1
	s_load_b32 s20, s[0:1], 0x0
	s_load_b256 s[4:11], s[0:1], 0x8
	s_bfe_u32 s18, ttmp6, 0x4000c
	s_load_b128 s[12:15], s[0:1], 0x30
	s_add_co_i32 s18, s18, 1
	s_wait_xcnt 0x0
	s_and_b32 s0, ttmp6, 15
	s_mul_i32 s1, ttmp9, s18
	v_dual_mov_b32 v3, 0 :: v_dual_lshlrev_b32 v0, 1, v0
	s_add_co_i32 s0, s0, s1
	s_cmp_eq_u32 s17, 0
	s_cselect_b32 s0, ttmp9, s0
	s_delay_alu instid0(VALU_DEP_1) | instid1(SALU_CYCLE_1)
	v_lshl_or_b32 v2, s0, 9, v0
	s_delay_alu instid0(VALU_DEP_1) | instskip(SKIP_2) | instid1(SALU_CYCLE_1)
	v_lshlrev_b64_e32 v[0:1], 1, v[2:3]
	s_wait_kmcnt 0x0
	s_add_co_i32 s18, s20, -1
	s_ashr_i32 s19, s18, 31
	s_bitcmp1_b32 s20, 0
	v_cmp_eq_u64_e64 s0, s[18:19], v[2:3]
	s_cselect_b32 s1, -1, 0
	s_lshl_b64 s[10:11], s[10:11], 1
	s_lshl_b64 s[14:15], s[14:15], 1
	v_cmp_gt_i64_e32 vcc_lo, s[18:19], v[2:3]
	s_and_b32 s1, s1, s0
	s_branch .LBB174_5
.LBB174_2:                              ;   in Loop: Header=BB174_5 Depth=1
	s_or_b32 exec_lo, exec_lo, s17
	flat_store_d16_hi_b16 v[2:3], v5
.LBB174_3:                              ;   in Loop: Header=BB174_5 Depth=1
	s_wait_xcnt 0x0
	s_or_b32 exec_lo, exec_lo, s18
.LBB174_4:                              ;   in Loop: Header=BB174_5 Depth=1
	s_add_co_i32 s2, s2, 0x10000
	s_delay_alu instid0(SALU_CYCLE_1)
	s_cmp_lt_u32 s2, s16
	s_cbranch_scc0 .LBB174_33
.LBB174_5:                              ; =>This Inner Loop Header: Depth=1
	s_wait_xcnt 0x0
	s_mul_u64 s[18:19], s[6:7], s[2:3]
	s_delay_alu instid0(SALU_CYCLE_1) | instskip(NEXT) | instid1(SALU_CYCLE_1)
	s_lshl_b64 s[18:19], s[18:19], 2
	s_add_nc_u64 s[18:19], s[4:5], s[18:19]
	s_load_b32 s17, s[18:19], 0x0
	s_wait_kmcnt 0x0
	s_cmp_eq_f32 s17, 0
	s_cbranch_scc1 .LBB174_4
; %bb.6:                                ;   in Loop: Header=BB174_5 Depth=1
	s_wait_xcnt 0x0
	s_lshl_b64 s[18:19], s[2:3], 3
	s_delay_alu instid0(SALU_CYCLE_1)
	s_add_nc_u64 s[20:21], s[12:13], s[18:19]
	s_add_nc_u64 s[18:19], s[8:9], s[18:19]
	s_load_b64 s[22:23], s[20:21], 0x0
	s_load_b64 s[24:25], s[18:19], 0x0
	s_wait_kmcnt 0x0
	s_wait_xcnt 0x0
	s_add_nc_u64 s[18:19], s[22:23], s[14:15]
	s_add_nc_u64 s[20:21], s[24:25], s[10:11]
	v_add_nc_u64_e32 v[2:3], s[18:19], v[0:1]
	v_add_nc_u64_e32 v[4:5], s[20:21], v[0:1]
	s_and_saveexec_b32 s18, vcc_lo
	s_cbranch_execz .LBB174_24
; %bb.7:                                ;   in Loop: Header=BB174_5 Depth=1
	flat_load_u16 v7, v[4:5]
	flat_load_u16 v6, v[2:3]
	s_wait_loadcnt_dscnt 0x101
	v_lshlrev_b32_e32 v7, 16, v7
	s_delay_alu instid0(VALU_DEP_1) | instskip(NEXT) | instid1(VALU_DEP_1)
	v_mul_f32_e32 v7, s17, v7
	v_and_b32_e32 v8, 0x7f800000, v7
	s_delay_alu instid0(VALU_DEP_1) | instskip(SKIP_2) | instid1(SALU_CYCLE_1)
	v_cmp_ne_u32_e64 s0, 0x7f800000, v8
                                        ; implicit-def: $vgpr8
	s_wait_xcnt 0x0
	s_and_saveexec_b32 s19, s0
	s_xor_b32 s0, exec_lo, s19
; %bb.8:                                ;   in Loop: Header=BB174_5 Depth=1
	v_bfe_u32 v8, v7, 16, 1
	s_delay_alu instid0(VALU_DEP_1)
	v_add3_u32 v8, v7, v8, 0x7fff
                                        ; implicit-def: $vgpr7
; %bb.9:                                ;   in Loop: Header=BB174_5 Depth=1
	s_and_not1_saveexec_b32 s19, s0
; %bb.10:                               ;   in Loop: Header=BB174_5 Depth=1
	v_and_b32_e32 v8, 0xffff, v7
	v_or_b32_e32 v9, 0x10000, v7
	s_delay_alu instid0(VALU_DEP_2) | instskip(NEXT) | instid1(VALU_DEP_1)
	v_cmp_eq_u32_e64 s0, 0, v8
	v_cndmask_b32_e64 v8, v9, v7, s0
; %bb.11:                               ;   in Loop: Header=BB174_5 Depth=1
	s_or_b32 exec_lo, exec_lo, s19
	s_delay_alu instid0(VALU_DEP_1) | instskip(SKIP_2) | instid1(VALU_DEP_1)
	v_and_b32_e32 v7, 0xffff0000, v8
	s_wait_loadcnt_dscnt 0x0
	v_lshlrev_b32_e32 v6, 16, v6
	v_add_f32_e32 v6, v6, v7
	s_delay_alu instid0(VALU_DEP_1) | instskip(NEXT) | instid1(VALU_DEP_1)
	v_and_b32_e32 v7, 0x7f800000, v6
	v_cmp_ne_u32_e64 s0, 0x7f800000, v7
                                        ; implicit-def: $vgpr7
	s_and_saveexec_b32 s19, s0
	s_delay_alu instid0(SALU_CYCLE_1)
	s_xor_b32 s0, exec_lo, s19
; %bb.12:                               ;   in Loop: Header=BB174_5 Depth=1
	v_bfe_u32 v7, v6, 16, 1
	s_delay_alu instid0(VALU_DEP_1)
	v_add3_u32 v7, v6, v7, 0x7fff
                                        ; implicit-def: $vgpr6
; %bb.13:                               ;   in Loop: Header=BB174_5 Depth=1
	s_and_not1_saveexec_b32 s19, s0
; %bb.14:                               ;   in Loop: Header=BB174_5 Depth=1
	v_and_b32_e32 v7, 0xffff, v6
	v_or_b32_e32 v8, 0x10000, v6
	s_delay_alu instid0(VALU_DEP_2) | instskip(NEXT) | instid1(VALU_DEP_1)
	v_cmp_eq_u32_e64 s0, 0, v7
	v_cndmask_b32_e64 v7, v8, v6, s0
; %bb.15:                               ;   in Loop: Header=BB174_5 Depth=1
	s_or_b32 exec_lo, exec_lo, s19
	flat_store_d16_hi_b16 v[2:3], v7
	flat_load_u16 v7, v[4:5] offset:2
	flat_load_u16 v6, v[2:3] offset:2
	s_wait_loadcnt_dscnt 0x101
	v_lshlrev_b32_e32 v7, 16, v7
	s_delay_alu instid0(VALU_DEP_1) | instskip(NEXT) | instid1(VALU_DEP_1)
	v_mul_f32_e32 v7, s17, v7
	v_and_b32_e32 v8, 0x7f800000, v7
	s_delay_alu instid0(VALU_DEP_1) | instskip(SKIP_2) | instid1(SALU_CYCLE_1)
	v_cmp_ne_u32_e64 s0, 0x7f800000, v8
                                        ; implicit-def: $vgpr8
	s_wait_xcnt 0x0
	s_and_saveexec_b32 s19, s0
	s_xor_b32 s0, exec_lo, s19
; %bb.16:                               ;   in Loop: Header=BB174_5 Depth=1
	v_bfe_u32 v8, v7, 16, 1
	s_delay_alu instid0(VALU_DEP_1)
	v_add3_u32 v8, v7, v8, 0x7fff
                                        ; implicit-def: $vgpr7
; %bb.17:                               ;   in Loop: Header=BB174_5 Depth=1
	s_and_not1_saveexec_b32 s19, s0
; %bb.18:                               ;   in Loop: Header=BB174_5 Depth=1
	v_and_b32_e32 v8, 0xffff, v7
	v_or_b32_e32 v9, 0x10000, v7
	s_delay_alu instid0(VALU_DEP_2) | instskip(NEXT) | instid1(VALU_DEP_1)
	v_cmp_eq_u32_e64 s0, 0, v8
	v_cndmask_b32_e64 v8, v9, v7, s0
; %bb.19:                               ;   in Loop: Header=BB174_5 Depth=1
	s_or_b32 exec_lo, exec_lo, s19
	s_delay_alu instid0(VALU_DEP_1) | instskip(SKIP_2) | instid1(VALU_DEP_1)
	v_and_b32_e32 v7, 0xffff0000, v8
	s_wait_loadcnt_dscnt 0x0
	v_lshlrev_b32_e32 v6, 16, v6
	v_add_f32_e32 v6, v6, v7
	s_delay_alu instid0(VALU_DEP_1) | instskip(NEXT) | instid1(VALU_DEP_1)
	v_and_b32_e32 v7, 0x7f800000, v6
	v_cmp_ne_u32_e64 s0, 0x7f800000, v7
                                        ; implicit-def: $vgpr7
	s_and_saveexec_b32 s19, s0
	s_delay_alu instid0(SALU_CYCLE_1)
	s_xor_b32 s0, exec_lo, s19
; %bb.20:                               ;   in Loop: Header=BB174_5 Depth=1
	v_bfe_u32 v7, v6, 16, 1
	s_delay_alu instid0(VALU_DEP_1)
	v_add3_u32 v7, v6, v7, 0x7fff
                                        ; implicit-def: $vgpr6
; %bb.21:                               ;   in Loop: Header=BB174_5 Depth=1
	s_and_not1_saveexec_b32 s19, s0
; %bb.22:                               ;   in Loop: Header=BB174_5 Depth=1
	v_and_b32_e32 v7, 0xffff, v6
	v_or_b32_e32 v8, 0x10000, v6
	s_delay_alu instid0(VALU_DEP_2) | instskip(NEXT) | instid1(VALU_DEP_1)
	v_cmp_eq_u32_e64 s0, 0, v7
	v_cndmask_b32_e64 v7, v8, v6, s0
; %bb.23:                               ;   in Loop: Header=BB174_5 Depth=1
	s_or_b32 exec_lo, exec_lo, s19
	flat_store_d16_hi_b16 v[2:3], v7 offset:2
.LBB174_24:                             ;   in Loop: Header=BB174_5 Depth=1
	s_wait_xcnt 0x0
	s_or_b32 exec_lo, exec_lo, s18
	s_and_saveexec_b32 s18, s1
	s_cbranch_execz .LBB174_3
; %bb.25:                               ;   in Loop: Header=BB174_5 Depth=1
	flat_load_u16 v7, v[4:5]
	flat_load_u16 v6, v[2:3]
	s_wait_loadcnt_dscnt 0x101
	s_wait_xcnt 0x1
	v_lshlrev_b32_e32 v4, 16, v7
	s_delay_alu instid0(VALU_DEP_1) | instskip(NEXT) | instid1(VALU_DEP_1)
	v_mul_f32_e32 v4, s17, v4
	v_and_b32_e32 v5, 0x7f800000, v4
	s_delay_alu instid0(VALU_DEP_1) | instskip(SKIP_2) | instid1(SALU_CYCLE_1)
	v_cmp_ne_u32_e64 s0, 0x7f800000, v5
                                        ; implicit-def: $vgpr5
	s_wait_xcnt 0x0
	s_and_saveexec_b32 s17, s0
	s_xor_b32 s0, exec_lo, s17
; %bb.26:                               ;   in Loop: Header=BB174_5 Depth=1
	v_bfe_u32 v5, v4, 16, 1
	s_delay_alu instid0(VALU_DEP_1)
	v_add3_u32 v5, v4, v5, 0x7fff
                                        ; implicit-def: $vgpr4
; %bb.27:                               ;   in Loop: Header=BB174_5 Depth=1
	s_and_not1_saveexec_b32 s17, s0
; %bb.28:                               ;   in Loop: Header=BB174_5 Depth=1
	v_and_b32_e32 v5, 0xffff, v4
	v_or_b32_e32 v7, 0x10000, v4
	s_delay_alu instid0(VALU_DEP_2) | instskip(NEXT) | instid1(VALU_DEP_1)
	v_cmp_eq_u32_e64 s0, 0, v5
	v_cndmask_b32_e64 v5, v7, v4, s0
; %bb.29:                               ;   in Loop: Header=BB174_5 Depth=1
	s_or_b32 exec_lo, exec_lo, s17
	s_delay_alu instid0(VALU_DEP_1) | instskip(SKIP_2) | instid1(VALU_DEP_1)
	v_and_b32_e32 v4, 0xffff0000, v5
	s_wait_loadcnt_dscnt 0x0
	v_lshlrev_b32_e32 v5, 16, v6
	v_add_f32_e32 v4, v5, v4
	s_delay_alu instid0(VALU_DEP_1) | instskip(NEXT) | instid1(VALU_DEP_1)
	v_and_b32_e32 v5, 0x7f800000, v4
	v_cmp_ne_u32_e64 s0, 0x7f800000, v5
                                        ; implicit-def: $vgpr5
	s_and_saveexec_b32 s17, s0
	s_delay_alu instid0(SALU_CYCLE_1)
	s_xor_b32 s0, exec_lo, s17
; %bb.30:                               ;   in Loop: Header=BB174_5 Depth=1
	v_bfe_u32 v5, v4, 16, 1
	s_delay_alu instid0(VALU_DEP_1)
	v_add3_u32 v5, v4, v5, 0x7fff
                                        ; implicit-def: $vgpr4
; %bb.31:                               ;   in Loop: Header=BB174_5 Depth=1
	s_and_not1_saveexec_b32 s17, s0
	s_cbranch_execz .LBB174_2
; %bb.32:                               ;   in Loop: Header=BB174_5 Depth=1
	v_and_b32_e32 v5, 0xffff, v4
	v_or_b32_e32 v6, 0x10000, v4
	s_delay_alu instid0(VALU_DEP_2) | instskip(NEXT) | instid1(VALU_DEP_1)
	v_cmp_eq_u32_e64 s0, 0, v5
	v_cndmask_b32_e64 v5, v6, v4, s0
	s_branch .LBB174_2
.LBB174_33:
	s_endpgm
	.section	.rodata,"a",@progbits
	.p2align	6, 0x0
	.amdhsa_kernel _ZL22rocblas_saxpy_2_kernelILi256EfPKfPKPK16rocblas_bfloat16PKPS2_EviT1_lT2_llT3_lli
		.amdhsa_group_segment_fixed_size 0
		.amdhsa_private_segment_fixed_size 0
		.amdhsa_kernarg_size 76
		.amdhsa_user_sgpr_count 2
		.amdhsa_user_sgpr_dispatch_ptr 0
		.amdhsa_user_sgpr_queue_ptr 0
		.amdhsa_user_sgpr_kernarg_segment_ptr 1
		.amdhsa_user_sgpr_dispatch_id 0
		.amdhsa_user_sgpr_kernarg_preload_length 0
		.amdhsa_user_sgpr_kernarg_preload_offset 0
		.amdhsa_user_sgpr_private_segment_size 0
		.amdhsa_wavefront_size32 1
		.amdhsa_uses_dynamic_stack 0
		.amdhsa_enable_private_segment 0
		.amdhsa_system_sgpr_workgroup_id_x 1
		.amdhsa_system_sgpr_workgroup_id_y 0
		.amdhsa_system_sgpr_workgroup_id_z 1
		.amdhsa_system_sgpr_workgroup_info 0
		.amdhsa_system_vgpr_workitem_id 0
		.amdhsa_next_free_vgpr 10
		.amdhsa_next_free_sgpr 26
		.amdhsa_named_barrier_count 0
		.amdhsa_reserve_vcc 1
		.amdhsa_float_round_mode_32 0
		.amdhsa_float_round_mode_16_64 0
		.amdhsa_float_denorm_mode_32 3
		.amdhsa_float_denorm_mode_16_64 3
		.amdhsa_fp16_overflow 0
		.amdhsa_memory_ordered 1
		.amdhsa_forward_progress 1
		.amdhsa_inst_pref_size 10
		.amdhsa_round_robin_scheduling 0
		.amdhsa_exception_fp_ieee_invalid_op 0
		.amdhsa_exception_fp_denorm_src 0
		.amdhsa_exception_fp_ieee_div_zero 0
		.amdhsa_exception_fp_ieee_overflow 0
		.amdhsa_exception_fp_ieee_underflow 0
		.amdhsa_exception_fp_ieee_inexact 0
		.amdhsa_exception_int_div_zero 0
	.end_amdhsa_kernel
	.section	.text._ZL22rocblas_saxpy_2_kernelILi256EfPKfPKPK16rocblas_bfloat16PKPS2_EviT1_lT2_llT3_lli,"axG",@progbits,_ZL22rocblas_saxpy_2_kernelILi256EfPKfPKPK16rocblas_bfloat16PKPS2_EviT1_lT2_llT3_lli,comdat
.Lfunc_end174:
	.size	_ZL22rocblas_saxpy_2_kernelILi256EfPKfPKPK16rocblas_bfloat16PKPS2_EviT1_lT2_llT3_lli, .Lfunc_end174-_ZL22rocblas_saxpy_2_kernelILi256EfPKfPKPK16rocblas_bfloat16PKPS2_EviT1_lT2_llT3_lli
                                        ; -- End function
	.set _ZL22rocblas_saxpy_2_kernelILi256EfPKfPKPK16rocblas_bfloat16PKPS2_EviT1_lT2_llT3_lli.num_vgpr, 10
	.set _ZL22rocblas_saxpy_2_kernelILi256EfPKfPKPK16rocblas_bfloat16PKPS2_EviT1_lT2_llT3_lli.num_agpr, 0
	.set _ZL22rocblas_saxpy_2_kernelILi256EfPKfPKPK16rocblas_bfloat16PKPS2_EviT1_lT2_llT3_lli.numbered_sgpr, 26
	.set _ZL22rocblas_saxpy_2_kernelILi256EfPKfPKPK16rocblas_bfloat16PKPS2_EviT1_lT2_llT3_lli.num_named_barrier, 0
	.set _ZL22rocblas_saxpy_2_kernelILi256EfPKfPKPK16rocblas_bfloat16PKPS2_EviT1_lT2_llT3_lli.private_seg_size, 0
	.set _ZL22rocblas_saxpy_2_kernelILi256EfPKfPKPK16rocblas_bfloat16PKPS2_EviT1_lT2_llT3_lli.uses_vcc, 1
	.set _ZL22rocblas_saxpy_2_kernelILi256EfPKfPKPK16rocblas_bfloat16PKPS2_EviT1_lT2_llT3_lli.uses_flat_scratch, 0
	.set _ZL22rocblas_saxpy_2_kernelILi256EfPKfPKPK16rocblas_bfloat16PKPS2_EviT1_lT2_llT3_lli.has_dyn_sized_stack, 0
	.set _ZL22rocblas_saxpy_2_kernelILi256EfPKfPKPK16rocblas_bfloat16PKPS2_EviT1_lT2_llT3_lli.has_recursion, 0
	.set _ZL22rocblas_saxpy_2_kernelILi256EfPKfPKPK16rocblas_bfloat16PKPS2_EviT1_lT2_llT3_lli.has_indirect_call, 0
	.section	.AMDGPU.csdata,"",@progbits
; Kernel info:
; codeLenInByte = 1228
; TotalNumSgprs: 28
; NumVgprs: 10
; ScratchSize: 0
; MemoryBound: 0
; FloatMode: 240
; IeeeMode: 1
; LDSByteSize: 0 bytes/workgroup (compile time only)
; SGPRBlocks: 0
; VGPRBlocks: 0
; NumSGPRsForWavesPerEU: 28
; NumVGPRsForWavesPerEU: 10
; NamedBarCnt: 0
; Occupancy: 16
; WaveLimiterHint : 1
; COMPUTE_PGM_RSRC2:SCRATCH_EN: 0
; COMPUTE_PGM_RSRC2:USER_SGPR: 2
; COMPUTE_PGM_RSRC2:TRAP_HANDLER: 0
; COMPUTE_PGM_RSRC2:TGID_X_EN: 1
; COMPUTE_PGM_RSRC2:TGID_Y_EN: 0
; COMPUTE_PGM_RSRC2:TGID_Z_EN: 1
; COMPUTE_PGM_RSRC2:TIDIG_COMP_CNT: 0
	.section	.text._ZL22rocblas_saxpy_2_kernelILi256EffPKPK16rocblas_bfloat16PKPS0_EviT1_lT2_llT3_lli,"axG",@progbits,_ZL22rocblas_saxpy_2_kernelILi256EffPKPK16rocblas_bfloat16PKPS0_EviT1_lT2_llT3_lli,comdat
	.globl	_ZL22rocblas_saxpy_2_kernelILi256EffPKPK16rocblas_bfloat16PKPS0_EviT1_lT2_llT3_lli ; -- Begin function _ZL22rocblas_saxpy_2_kernelILi256EffPKPK16rocblas_bfloat16PKPS0_EviT1_lT2_llT3_lli
	.p2align	8
	.type	_ZL22rocblas_saxpy_2_kernelILi256EffPKPK16rocblas_bfloat16PKPS0_EviT1_lT2_llT3_lli,@function
_ZL22rocblas_saxpy_2_kernelILi256EffPKPK16rocblas_bfloat16PKPS0_EviT1_lT2_llT3_lli: ; @_ZL22rocblas_saxpy_2_kernelILi256EffPKPK16rocblas_bfloat16PKPS0_EviT1_lT2_llT3_lli
; %bb.0:
	s_load_b32 s12, s[0:1], 0x40
	s_bfe_u32 s2, ttmp6, 0x40014
	s_lshr_b32 s3, ttmp7, 16
	s_add_co_i32 s2, s2, 1
	s_bfe_u32 s4, ttmp6, 0x40008
	s_mul_i32 s2, s3, s2
	s_getreg_b32 s14, hwreg(HW_REG_IB_STS2, 6, 4)
	s_add_co_i32 s4, s4, s2
	s_cmp_eq_u32 s14, 0
	s_cselect_b32 s13, s3, s4
	s_wait_kmcnt 0x0
	s_cmp_ge_u32 s13, s12
	s_cbranch_scc1 .LBB175_33
; %bb.1:
	s_clause 0x1
	s_load_b64 s[2:3], s[0:1], 0x0
	s_load_b128 s[4:7], s[0:1], 0x10
	s_bfe_u32 s8, ttmp6, 0x4000c
	s_and_b32 s15, ttmp6, 15
	s_add_co_i32 s8, s8, 1
	v_dual_mov_b32 v3, 0 :: v_dual_lshlrev_b32 v0, 1, v0
	s_mul_i32 s16, ttmp9, s8
	s_load_b128 s[8:11], s[0:1], 0x28
	s_add_co_i32 s15, s15, s16
	s_cmp_eq_u32 s14, 0
	s_wait_xcnt 0x0
	s_cselect_b32 s0, ttmp9, s15
	s_delay_alu instid0(SALU_CYCLE_1) | instskip(NEXT) | instid1(VALU_DEP_1)
	v_lshl_or_b32 v2, s0, 9, v0
	v_lshlrev_b64_e32 v[0:1], 1, v[2:3]
	s_wait_kmcnt 0x0
	s_cmp_neq_f32 s3, 0
	s_cselect_b32 s1, -1, 0
	s_add_co_i32 s14, s2, -1
	s_delay_alu instid0(SALU_CYCLE_1)
	s_ashr_i32 s15, s14, 31
	s_bitcmp1_b32 s2, 0
	v_cmp_eq_u64_e32 vcc_lo, s[14:15], v[2:3]
	v_cmp_gt_i64_e64 s0, s[14:15], v[2:3]
	s_cselect_b32 s2, -1, 0
	s_lshl_b64 s[6:7], s[6:7], 1
	s_lshl_b64 s[10:11], s[10:11], 1
	s_and_b32 s2, s2, vcc_lo
	s_branch .LBB175_5
.LBB175_2:                              ;   in Loop: Header=BB175_5 Depth=1
	s_or_b32 exec_lo, exec_lo, s15
	flat_store_d16_hi_b16 v[2:3], v5
.LBB175_3:                              ;   in Loop: Header=BB175_5 Depth=1
	s_wait_xcnt 0x0
	s_or_b32 exec_lo, exec_lo, s14
.LBB175_4:                              ;   in Loop: Header=BB175_5 Depth=1
	s_add_co_i32 s13, s13, 0x10000
	s_delay_alu instid0(SALU_CYCLE_1)
	s_cmp_lt_u32 s13, s12
	s_cbranch_scc0 .LBB175_33
.LBB175_5:                              ; =>This Inner Loop Header: Depth=1
	s_and_not1_b32 vcc_lo, exec_lo, s1
	s_cbranch_vccnz .LBB175_4
; %bb.6:                                ;   in Loop: Header=BB175_5 Depth=1
	s_load_b64 s[14:15], s[8:9], s13 offset:0x0 scale_offset
	s_load_b64 s[16:17], s[4:5], s13 offset:0x0 scale_offset
	s_wait_kmcnt 0x0
	s_add_nc_u64 s[14:15], s[14:15], s[10:11]
	s_add_nc_u64 s[16:17], s[16:17], s[6:7]
	v_add_nc_u64_e32 v[2:3], s[14:15], v[0:1]
	v_add_nc_u64_e32 v[4:5], s[16:17], v[0:1]
	s_and_saveexec_b32 s14, s0
	s_cbranch_execz .LBB175_24
; %bb.7:                                ;   in Loop: Header=BB175_5 Depth=1
	flat_load_u16 v7, v[4:5]
	flat_load_u16 v6, v[2:3]
	s_wait_loadcnt_dscnt 0x101
	v_lshlrev_b32_e32 v7, 16, v7
	s_delay_alu instid0(VALU_DEP_1) | instskip(NEXT) | instid1(VALU_DEP_1)
	v_mul_f32_e32 v7, s3, v7
	v_and_b32_e32 v8, 0x7f800000, v7
	s_delay_alu instid0(VALU_DEP_1) | instskip(SKIP_2) | instid1(SALU_CYCLE_1)
	v_cmp_ne_u32_e32 vcc_lo, 0x7f800000, v8
                                        ; implicit-def: $vgpr8
	s_wait_xcnt 0x0
	s_and_saveexec_b32 s15, vcc_lo
	s_xor_b32 s15, exec_lo, s15
; %bb.8:                                ;   in Loop: Header=BB175_5 Depth=1
	v_bfe_u32 v8, v7, 16, 1
	s_delay_alu instid0(VALU_DEP_1)
	v_add3_u32 v8, v7, v8, 0x7fff
                                        ; implicit-def: $vgpr7
; %bb.9:                                ;   in Loop: Header=BB175_5 Depth=1
	s_and_not1_saveexec_b32 s15, s15
; %bb.10:                               ;   in Loop: Header=BB175_5 Depth=1
	v_and_b32_e32 v8, 0xffff, v7
	v_or_b32_e32 v9, 0x10000, v7
	s_delay_alu instid0(VALU_DEP_2) | instskip(NEXT) | instid1(VALU_DEP_2)
	v_cmp_eq_u32_e32 vcc_lo, 0, v8
	v_cndmask_b32_e32 v8, v9, v7, vcc_lo
; %bb.11:                               ;   in Loop: Header=BB175_5 Depth=1
	s_or_b32 exec_lo, exec_lo, s15
	s_delay_alu instid0(VALU_DEP_1) | instskip(SKIP_2) | instid1(VALU_DEP_1)
	v_and_b32_e32 v7, 0xffff0000, v8
	s_wait_loadcnt_dscnt 0x0
	v_lshlrev_b32_e32 v6, 16, v6
	v_add_f32_e32 v6, v6, v7
	s_delay_alu instid0(VALU_DEP_1) | instskip(NEXT) | instid1(VALU_DEP_1)
	v_and_b32_e32 v7, 0x7f800000, v6
	v_cmp_ne_u32_e32 vcc_lo, 0x7f800000, v7
                                        ; implicit-def: $vgpr7
	s_and_saveexec_b32 s15, vcc_lo
	s_delay_alu instid0(SALU_CYCLE_1)
	s_xor_b32 s15, exec_lo, s15
; %bb.12:                               ;   in Loop: Header=BB175_5 Depth=1
	v_bfe_u32 v7, v6, 16, 1
	s_delay_alu instid0(VALU_DEP_1)
	v_add3_u32 v7, v6, v7, 0x7fff
                                        ; implicit-def: $vgpr6
; %bb.13:                               ;   in Loop: Header=BB175_5 Depth=1
	s_and_not1_saveexec_b32 s15, s15
; %bb.14:                               ;   in Loop: Header=BB175_5 Depth=1
	v_and_b32_e32 v7, 0xffff, v6
	v_or_b32_e32 v8, 0x10000, v6
	s_delay_alu instid0(VALU_DEP_2) | instskip(NEXT) | instid1(VALU_DEP_2)
	v_cmp_eq_u32_e32 vcc_lo, 0, v7
	v_cndmask_b32_e32 v7, v8, v6, vcc_lo
; %bb.15:                               ;   in Loop: Header=BB175_5 Depth=1
	s_or_b32 exec_lo, exec_lo, s15
	flat_store_d16_hi_b16 v[2:3], v7
	flat_load_u16 v7, v[4:5] offset:2
	flat_load_u16 v6, v[2:3] offset:2
	s_wait_loadcnt_dscnt 0x101
	v_lshlrev_b32_e32 v7, 16, v7
	s_delay_alu instid0(VALU_DEP_1) | instskip(NEXT) | instid1(VALU_DEP_1)
	v_mul_f32_e32 v7, s3, v7
	v_and_b32_e32 v8, 0x7f800000, v7
	s_delay_alu instid0(VALU_DEP_1) | instskip(SKIP_2) | instid1(SALU_CYCLE_1)
	v_cmp_ne_u32_e32 vcc_lo, 0x7f800000, v8
                                        ; implicit-def: $vgpr8
	s_wait_xcnt 0x0
	s_and_saveexec_b32 s15, vcc_lo
	s_xor_b32 s15, exec_lo, s15
; %bb.16:                               ;   in Loop: Header=BB175_5 Depth=1
	v_bfe_u32 v8, v7, 16, 1
	s_delay_alu instid0(VALU_DEP_1)
	v_add3_u32 v8, v7, v8, 0x7fff
                                        ; implicit-def: $vgpr7
; %bb.17:                               ;   in Loop: Header=BB175_5 Depth=1
	s_and_not1_saveexec_b32 s15, s15
; %bb.18:                               ;   in Loop: Header=BB175_5 Depth=1
	v_and_b32_e32 v8, 0xffff, v7
	v_or_b32_e32 v9, 0x10000, v7
	s_delay_alu instid0(VALU_DEP_2) | instskip(NEXT) | instid1(VALU_DEP_2)
	v_cmp_eq_u32_e32 vcc_lo, 0, v8
	v_cndmask_b32_e32 v8, v9, v7, vcc_lo
; %bb.19:                               ;   in Loop: Header=BB175_5 Depth=1
	s_or_b32 exec_lo, exec_lo, s15
	s_delay_alu instid0(VALU_DEP_1) | instskip(SKIP_2) | instid1(VALU_DEP_1)
	v_and_b32_e32 v7, 0xffff0000, v8
	s_wait_loadcnt_dscnt 0x0
	v_lshlrev_b32_e32 v6, 16, v6
	v_add_f32_e32 v6, v6, v7
	s_delay_alu instid0(VALU_DEP_1) | instskip(NEXT) | instid1(VALU_DEP_1)
	v_and_b32_e32 v7, 0x7f800000, v6
	v_cmp_ne_u32_e32 vcc_lo, 0x7f800000, v7
                                        ; implicit-def: $vgpr7
	s_and_saveexec_b32 s15, vcc_lo
	s_delay_alu instid0(SALU_CYCLE_1)
	s_xor_b32 s15, exec_lo, s15
; %bb.20:                               ;   in Loop: Header=BB175_5 Depth=1
	v_bfe_u32 v7, v6, 16, 1
	s_delay_alu instid0(VALU_DEP_1)
	v_add3_u32 v7, v6, v7, 0x7fff
                                        ; implicit-def: $vgpr6
; %bb.21:                               ;   in Loop: Header=BB175_5 Depth=1
	s_and_not1_saveexec_b32 s15, s15
; %bb.22:                               ;   in Loop: Header=BB175_5 Depth=1
	v_and_b32_e32 v7, 0xffff, v6
	v_or_b32_e32 v8, 0x10000, v6
	s_delay_alu instid0(VALU_DEP_2) | instskip(NEXT) | instid1(VALU_DEP_2)
	v_cmp_eq_u32_e32 vcc_lo, 0, v7
	v_cndmask_b32_e32 v7, v8, v6, vcc_lo
; %bb.23:                               ;   in Loop: Header=BB175_5 Depth=1
	s_or_b32 exec_lo, exec_lo, s15
	flat_store_d16_hi_b16 v[2:3], v7 offset:2
.LBB175_24:                             ;   in Loop: Header=BB175_5 Depth=1
	s_wait_xcnt 0x0
	s_or_b32 exec_lo, exec_lo, s14
	s_and_saveexec_b32 s14, s2
	s_cbranch_execz .LBB175_3
; %bb.25:                               ;   in Loop: Header=BB175_5 Depth=1
	flat_load_u16 v7, v[4:5]
	flat_load_u16 v6, v[2:3]
	s_wait_loadcnt_dscnt 0x101
	s_wait_xcnt 0x1
	v_lshlrev_b32_e32 v4, 16, v7
	s_delay_alu instid0(VALU_DEP_1) | instskip(NEXT) | instid1(VALU_DEP_1)
	v_mul_f32_e32 v4, s3, v4
	v_and_b32_e32 v5, 0x7f800000, v4
	s_delay_alu instid0(VALU_DEP_1) | instskip(SKIP_2) | instid1(SALU_CYCLE_1)
	v_cmp_ne_u32_e32 vcc_lo, 0x7f800000, v5
                                        ; implicit-def: $vgpr5
	s_wait_xcnt 0x0
	s_and_saveexec_b32 s15, vcc_lo
	s_xor_b32 s15, exec_lo, s15
; %bb.26:                               ;   in Loop: Header=BB175_5 Depth=1
	v_bfe_u32 v5, v4, 16, 1
	s_delay_alu instid0(VALU_DEP_1)
	v_add3_u32 v5, v4, v5, 0x7fff
                                        ; implicit-def: $vgpr4
; %bb.27:                               ;   in Loop: Header=BB175_5 Depth=1
	s_and_not1_saveexec_b32 s15, s15
; %bb.28:                               ;   in Loop: Header=BB175_5 Depth=1
	v_and_b32_e32 v5, 0xffff, v4
	v_or_b32_e32 v7, 0x10000, v4
	s_delay_alu instid0(VALU_DEP_2) | instskip(NEXT) | instid1(VALU_DEP_2)
	v_cmp_eq_u32_e32 vcc_lo, 0, v5
	v_cndmask_b32_e32 v5, v7, v4, vcc_lo
; %bb.29:                               ;   in Loop: Header=BB175_5 Depth=1
	s_or_b32 exec_lo, exec_lo, s15
	s_delay_alu instid0(VALU_DEP_1) | instskip(SKIP_2) | instid1(VALU_DEP_1)
	v_and_b32_e32 v4, 0xffff0000, v5
	s_wait_loadcnt_dscnt 0x0
	v_lshlrev_b32_e32 v5, 16, v6
	v_add_f32_e32 v4, v5, v4
	s_delay_alu instid0(VALU_DEP_1) | instskip(NEXT) | instid1(VALU_DEP_1)
	v_and_b32_e32 v5, 0x7f800000, v4
	v_cmp_ne_u32_e32 vcc_lo, 0x7f800000, v5
                                        ; implicit-def: $vgpr5
	s_and_saveexec_b32 s15, vcc_lo
	s_delay_alu instid0(SALU_CYCLE_1)
	s_xor_b32 s15, exec_lo, s15
; %bb.30:                               ;   in Loop: Header=BB175_5 Depth=1
	v_bfe_u32 v5, v4, 16, 1
	s_delay_alu instid0(VALU_DEP_1)
	v_add3_u32 v5, v4, v5, 0x7fff
                                        ; implicit-def: $vgpr4
; %bb.31:                               ;   in Loop: Header=BB175_5 Depth=1
	s_and_not1_saveexec_b32 s15, s15
	s_cbranch_execz .LBB175_2
; %bb.32:                               ;   in Loop: Header=BB175_5 Depth=1
	v_and_b32_e32 v5, 0xffff, v4
	v_or_b32_e32 v6, 0x10000, v4
	s_delay_alu instid0(VALU_DEP_2) | instskip(NEXT) | instid1(VALU_DEP_2)
	v_cmp_eq_u32_e32 vcc_lo, 0, v5
	v_cndmask_b32_e32 v5, v6, v4, vcc_lo
	s_branch .LBB175_2
.LBB175_33:
	s_endpgm
	.section	.rodata,"a",@progbits
	.p2align	6, 0x0
	.amdhsa_kernel _ZL22rocblas_saxpy_2_kernelILi256EffPKPK16rocblas_bfloat16PKPS0_EviT1_lT2_llT3_lli
		.amdhsa_group_segment_fixed_size 0
		.amdhsa_private_segment_fixed_size 0
		.amdhsa_kernarg_size 68
		.amdhsa_user_sgpr_count 2
		.amdhsa_user_sgpr_dispatch_ptr 0
		.amdhsa_user_sgpr_queue_ptr 0
		.amdhsa_user_sgpr_kernarg_segment_ptr 1
		.amdhsa_user_sgpr_dispatch_id 0
		.amdhsa_user_sgpr_kernarg_preload_length 0
		.amdhsa_user_sgpr_kernarg_preload_offset 0
		.amdhsa_user_sgpr_private_segment_size 0
		.amdhsa_wavefront_size32 1
		.amdhsa_uses_dynamic_stack 0
		.amdhsa_enable_private_segment 0
		.amdhsa_system_sgpr_workgroup_id_x 1
		.amdhsa_system_sgpr_workgroup_id_y 0
		.amdhsa_system_sgpr_workgroup_id_z 1
		.amdhsa_system_sgpr_workgroup_info 0
		.amdhsa_system_vgpr_workitem_id 0
		.amdhsa_next_free_vgpr 10
		.amdhsa_next_free_sgpr 18
		.amdhsa_named_barrier_count 0
		.amdhsa_reserve_vcc 1
		.amdhsa_float_round_mode_32 0
		.amdhsa_float_round_mode_16_64 0
		.amdhsa_float_denorm_mode_32 3
		.amdhsa_float_denorm_mode_16_64 3
		.amdhsa_fp16_overflow 0
		.amdhsa_memory_ordered 1
		.amdhsa_forward_progress 1
		.amdhsa_inst_pref_size 9
		.amdhsa_round_robin_scheduling 0
		.amdhsa_exception_fp_ieee_invalid_op 0
		.amdhsa_exception_fp_denorm_src 0
		.amdhsa_exception_fp_ieee_div_zero 0
		.amdhsa_exception_fp_ieee_overflow 0
		.amdhsa_exception_fp_ieee_underflow 0
		.amdhsa_exception_fp_ieee_inexact 0
		.amdhsa_exception_int_div_zero 0
	.end_amdhsa_kernel
	.section	.text._ZL22rocblas_saxpy_2_kernelILi256EffPKPK16rocblas_bfloat16PKPS0_EviT1_lT2_llT3_lli,"axG",@progbits,_ZL22rocblas_saxpy_2_kernelILi256EffPKPK16rocblas_bfloat16PKPS0_EviT1_lT2_llT3_lli,comdat
.Lfunc_end175:
	.size	_ZL22rocblas_saxpy_2_kernelILi256EffPKPK16rocblas_bfloat16PKPS0_EviT1_lT2_llT3_lli, .Lfunc_end175-_ZL22rocblas_saxpy_2_kernelILi256EffPKPK16rocblas_bfloat16PKPS0_EviT1_lT2_llT3_lli
                                        ; -- End function
	.set _ZL22rocblas_saxpy_2_kernelILi256EffPKPK16rocblas_bfloat16PKPS0_EviT1_lT2_llT3_lli.num_vgpr, 10
	.set _ZL22rocblas_saxpy_2_kernelILi256EffPKPK16rocblas_bfloat16PKPS0_EviT1_lT2_llT3_lli.num_agpr, 0
	.set _ZL22rocblas_saxpy_2_kernelILi256EffPKPK16rocblas_bfloat16PKPS0_EviT1_lT2_llT3_lli.numbered_sgpr, 18
	.set _ZL22rocblas_saxpy_2_kernelILi256EffPKPK16rocblas_bfloat16PKPS0_EviT1_lT2_llT3_lli.num_named_barrier, 0
	.set _ZL22rocblas_saxpy_2_kernelILi256EffPKPK16rocblas_bfloat16PKPS0_EviT1_lT2_llT3_lli.private_seg_size, 0
	.set _ZL22rocblas_saxpy_2_kernelILi256EffPKPK16rocblas_bfloat16PKPS0_EviT1_lT2_llT3_lli.uses_vcc, 1
	.set _ZL22rocblas_saxpy_2_kernelILi256EffPKPK16rocblas_bfloat16PKPS0_EviT1_lT2_llT3_lli.uses_flat_scratch, 0
	.set _ZL22rocblas_saxpy_2_kernelILi256EffPKPK16rocblas_bfloat16PKPS0_EviT1_lT2_llT3_lli.has_dyn_sized_stack, 0
	.set _ZL22rocblas_saxpy_2_kernelILi256EffPKPK16rocblas_bfloat16PKPS0_EviT1_lT2_llT3_lli.has_recursion, 0
	.set _ZL22rocblas_saxpy_2_kernelILi256EffPKPK16rocblas_bfloat16PKPS0_EviT1_lT2_llT3_lli.has_indirect_call, 0
	.section	.AMDGPU.csdata,"",@progbits
; Kernel info:
; codeLenInByte = 1104
; TotalNumSgprs: 20
; NumVgprs: 10
; ScratchSize: 0
; MemoryBound: 0
; FloatMode: 240
; IeeeMode: 1
; LDSByteSize: 0 bytes/workgroup (compile time only)
; SGPRBlocks: 0
; VGPRBlocks: 0
; NumSGPRsForWavesPerEU: 20
; NumVGPRsForWavesPerEU: 10
; NamedBarCnt: 0
; Occupancy: 16
; WaveLimiterHint : 1
; COMPUTE_PGM_RSRC2:SCRATCH_EN: 0
; COMPUTE_PGM_RSRC2:USER_SGPR: 2
; COMPUTE_PGM_RSRC2:TRAP_HANDLER: 0
; COMPUTE_PGM_RSRC2:TGID_X_EN: 1
; COMPUTE_PGM_RSRC2:TGID_Y_EN: 0
; COMPUTE_PGM_RSRC2:TGID_Z_EN: 1
; COMPUTE_PGM_RSRC2:TIDIG_COMP_CNT: 0
	.section	.text._ZL27rocblas_axpy_kernel_batchedIiLi128ELi8EfPKfPKPK16rocblas_bfloat16PKPS2_EviT3_lT4_lT_lT5_lSC_li,"axG",@progbits,_ZL27rocblas_axpy_kernel_batchedIiLi128ELi8EfPKfPKPK16rocblas_bfloat16PKPS2_EviT3_lT4_lT_lT5_lSC_li,comdat
	.globl	_ZL27rocblas_axpy_kernel_batchedIiLi128ELi8EfPKfPKPK16rocblas_bfloat16PKPS2_EviT3_lT4_lT_lT5_lSC_li ; -- Begin function _ZL27rocblas_axpy_kernel_batchedIiLi128ELi8EfPKfPKPK16rocblas_bfloat16PKPS2_EviT3_lT4_lT_lT5_lSC_li
	.p2align	8
	.type	_ZL27rocblas_axpy_kernel_batchedIiLi128ELi8EfPKfPKPK16rocblas_bfloat16PKPS2_EviT3_lT4_lT_lT5_lSC_li,@function
_ZL27rocblas_axpy_kernel_batchedIiLi128ELi8EfPKfPKPK16rocblas_bfloat16PKPS2_EviT3_lT4_lT_lT5_lSC_li: ; @_ZL27rocblas_axpy_kernel_batchedIiLi128ELi8EfPKfPKPK16rocblas_bfloat16PKPS2_EviT3_lT4_lT_lT5_lSC_li
; %bb.0:
	s_load_b32 s4, s[0:1], 0x0
	s_bfe_u32 s2, ttmp6, 0x4000c
	s_and_b32 s5, ttmp6, 15
	s_add_co_i32 s2, s2, 1
	s_getreg_b32 s3, hwreg(HW_REG_IB_STS2, 6, 4)
	s_mul_i32 s2, ttmp9, s2
	v_and_b32_e32 v1, 0x3ff, v0
	s_add_co_i32 s2, s5, s2
	v_mov_b32_e32 v5, 0
	s_wait_kmcnt 0x0
	s_ashr_i32 s5, s4, 31
	s_cmp_eq_u32 s3, 0
	s_cselect_b32 s2, ttmp9, s2
	s_delay_alu instid0(SALU_CYCLE_1) | instskip(SKIP_1) | instid1(VALU_DEP_1)
	v_lshl_add_u32 v4, s2, 7, v1
	s_mov_b32 s2, exec_lo
	v_cmpx_gt_i64_e64 s[4:5], v[4:5]
	s_cbranch_execz .LBB176_47
; %bb.1:
	s_load_b32 s2, s[0:1], 0x58
	s_bfe_u32 s4, ttmp6, 0x40014
	v_lshrrev_b32_e32 v0, 8, v0
	s_lshr_b32 s5, ttmp7, 16
	s_add_co_i32 s4, s4, 1
	s_bfe_u32 s6, ttmp6, 0x40008
	s_mul_i32 s4, s5, s4
	v_and_b32_e32 v0, 0xffc, v0
	s_add_co_i32 s6, s6, s4
	s_cmp_eq_u32 s3, 0
	s_cselect_b32 s3, s5, s6
	s_delay_alu instid0(VALU_DEP_1) | instid1(SALU_CYCLE_1)
	v_lshl_add_u32 v0, s3, 5, v0
	s_wait_kmcnt 0x0
	s_delay_alu instid0(VALU_DEP_1)
	v_cmp_gt_u32_e32 vcc_lo, s2, v0
	s_and_b32 exec_lo, exec_lo, vcc_lo
	s_cbranch_execz .LBB176_47
; %bb.2:
	s_clause 0x3
	s_load_b32 s4, s[0:1], 0x28
	s_load_b32 s6, s[0:1], 0x48
	s_load_b128 s[12:15], s[0:1], 0x38
	s_load_b32 s3, s[0:1], 0x68
	v_mov_b32_e32 v1, 0
	s_wait_kmcnt 0x0
	s_ashr_i32 s5, s4, 31
	s_ashr_i32 s7, s6, 31
	v_mul_u64_e32 v[2:3], s[4:5], v[4:5]
	v_mul_u64_e32 v[4:5], s[6:7], v[4:5]
	s_load_b256 s[4:11], s[0:1], 0x8
	s_wait_xcnt 0x0
	s_lshl_b32 s0, s3, 5
	s_mov_b32 s1, 0
	s_branch .LBB176_5
.LBB176_3:                              ;   in Loop: Header=BB176_5 Depth=1
	s_or_b32 exec_lo, exec_lo, s16
	flat_store_d16_hi_b16 v[6:7], v9
.LBB176_4:                              ;   in Loop: Header=BB176_5 Depth=1
	s_wait_xcnt 0x0
	s_or_b32 exec_lo, exec_lo, s3
	v_add_nc_u32_e32 v0, s0, v0
	s_delay_alu instid0(VALU_DEP_1) | instskip(SKIP_1) | instid1(SALU_CYCLE_1)
	v_cmp_le_u32_e32 vcc_lo, s2, v0
	s_or_b32 s1, vcc_lo, s1
	s_and_not1_b32 exec_lo, exec_lo, s1
	s_cbranch_execz .LBB176_47
.LBB176_5:                              ; =>This Inner Loop Header: Depth=1
	s_wait_kmcnt 0x0
	v_mul_u64_e32 v[6:7], s[6:7], v[0:1]
	s_mov_b32 s3, exec_lo
	s_delay_alu instid0(VALU_DEP_1)
	v_lshl_add_u64 v[6:7], v[6:7], 2, s[4:5]
	global_load_b32 v9, v[6:7], off
	s_wait_loadcnt 0x0
	s_wait_xcnt 0x0
	v_cmpx_neq_f32_e32 0, v9
	s_cbranch_execz .LBB176_15
; %bb.6:                                ;   in Loop: Header=BB176_5 Depth=1
	v_lshlrev_b64_e32 v[6:7], 3, v[0:1]
	s_delay_alu instid0(VALU_DEP_1)
	v_add_nc_u64_e32 v[10:11], s[8:9], v[6:7]
	v_add_nc_u64_e32 v[6:7], s[12:13], v[6:7]
	global_load_b64 v[10:11], v[10:11], off
	global_load_b64 v[6:7], v[6:7], off
	s_wait_loadcnt 0x1
	s_wait_xcnt 0x1
	v_lshl_add_u64 v[10:11], s[10:11], 1, v[10:11]
	s_wait_loadcnt 0x0
	s_wait_xcnt 0x0
	v_lshl_add_u64 v[6:7], s[14:15], 1, v[6:7]
	s_delay_alu instid0(VALU_DEP_2) | instskip(NEXT) | instid1(VALU_DEP_2)
	v_lshl_add_u64 v[10:11], v[2:3], 1, v[10:11]
	v_lshl_add_u64 v[6:7], v[4:5], 1, v[6:7]
	flat_load_u16 v10, v[10:11]
	flat_load_u16 v8, v[6:7]
	s_wait_loadcnt_dscnt 0x101
	s_wait_xcnt 0x1
	v_lshlrev_b32_e32 v10, 16, v10
	s_delay_alu instid0(VALU_DEP_1) | instskip(NEXT) | instid1(VALU_DEP_1)
	v_mul_f32_e32 v9, v9, v10
	v_and_b32_e32 v10, 0x7f800000, v9
	s_delay_alu instid0(VALU_DEP_1) | instskip(SKIP_2) | instid1(SALU_CYCLE_1)
	v_cmp_ne_u32_e32 vcc_lo, 0x7f800000, v10
                                        ; implicit-def: $vgpr10
	s_wait_xcnt 0x0
	s_and_saveexec_b32 s16, vcc_lo
	s_xor_b32 s16, exec_lo, s16
; %bb.7:                                ;   in Loop: Header=BB176_5 Depth=1
	v_bfe_u32 v10, v9, 16, 1
	s_delay_alu instid0(VALU_DEP_1)
	v_add3_u32 v10, v9, v10, 0x7fff
                                        ; implicit-def: $vgpr9
; %bb.8:                                ;   in Loop: Header=BB176_5 Depth=1
	s_and_not1_saveexec_b32 s16, s16
; %bb.9:                                ;   in Loop: Header=BB176_5 Depth=1
	v_and_b32_e32 v10, 0xffff, v9
	v_or_b32_e32 v11, 0x10000, v9
	s_delay_alu instid0(VALU_DEP_2) | instskip(NEXT) | instid1(VALU_DEP_2)
	v_cmp_eq_u32_e32 vcc_lo, 0, v10
	v_cndmask_b32_e32 v10, v11, v9, vcc_lo
; %bb.10:                               ;   in Loop: Header=BB176_5 Depth=1
	s_or_b32 exec_lo, exec_lo, s16
	s_delay_alu instid0(VALU_DEP_1) | instskip(SKIP_2) | instid1(VALU_DEP_1)
	v_and_b32_e32 v9, 0xffff0000, v10
	s_wait_loadcnt_dscnt 0x0
	v_lshlrev_b32_e32 v8, 16, v8
	v_add_f32_e32 v8, v8, v9
	s_delay_alu instid0(VALU_DEP_1) | instskip(NEXT) | instid1(VALU_DEP_1)
	v_and_b32_e32 v9, 0x7f800000, v8
	v_cmp_ne_u32_e32 vcc_lo, 0x7f800000, v9
                                        ; implicit-def: $vgpr9
	s_and_saveexec_b32 s16, vcc_lo
	s_delay_alu instid0(SALU_CYCLE_1)
	s_xor_b32 s16, exec_lo, s16
; %bb.11:                               ;   in Loop: Header=BB176_5 Depth=1
	v_bfe_u32 v9, v8, 16, 1
	s_delay_alu instid0(VALU_DEP_1)
	v_add3_u32 v9, v8, v9, 0x7fff
                                        ; implicit-def: $vgpr8
; %bb.12:                               ;   in Loop: Header=BB176_5 Depth=1
	s_and_not1_saveexec_b32 s16, s16
; %bb.13:                               ;   in Loop: Header=BB176_5 Depth=1
	v_and_b32_e32 v9, 0xffff, v8
	v_or_b32_e32 v10, 0x10000, v8
	s_delay_alu instid0(VALU_DEP_2) | instskip(NEXT) | instid1(VALU_DEP_2)
	v_cmp_eq_u32_e32 vcc_lo, 0, v9
	v_cndmask_b32_e32 v9, v10, v8, vcc_lo
; %bb.14:                               ;   in Loop: Header=BB176_5 Depth=1
	s_or_b32 exec_lo, exec_lo, s16
	flat_store_d16_hi_b16 v[6:7], v9
.LBB176_15:                             ;   in Loop: Header=BB176_5 Depth=1
	s_wait_xcnt 0x0
	s_or_b32 exec_lo, exec_lo, s3
	v_add_nc_u32_e32 v6, 1, v0
	s_mov_b32 s3, exec_lo
	s_delay_alu instid0(VALU_DEP_1)
	v_cmpx_gt_u32_e64 s2, v6
	s_cbranch_execz .LBB176_26
; %bb.16:                               ;   in Loop: Header=BB176_5 Depth=1
	v_mov_b32_e32 v7, v1
	s_delay_alu instid0(VALU_DEP_1) | instskip(NEXT) | instid1(VALU_DEP_1)
	v_mul_u64_e32 v[6:7], s[6:7], v[6:7]
	v_lshl_add_u64 v[6:7], v[6:7], 2, s[4:5]
	global_load_b32 v9, v[6:7], off
	s_wait_loadcnt 0x0
	v_cmp_neq_f32_e32 vcc_lo, 0, v9
	s_wait_xcnt 0x0
	s_and_b32 exec_lo, exec_lo, vcc_lo
	s_cbranch_execz .LBB176_26
; %bb.17:                               ;   in Loop: Header=BB176_5 Depth=1
	v_lshlrev_b64_e32 v[6:7], 3, v[0:1]
	s_delay_alu instid0(VALU_DEP_1)
	v_add_nc_u64_e32 v[10:11], s[8:9], v[6:7]
	v_add_nc_u64_e32 v[6:7], s[12:13], v[6:7]
	global_load_b64 v[10:11], v[10:11], off offset:8
	global_load_b64 v[6:7], v[6:7], off offset:8
	s_wait_loadcnt 0x1
	s_wait_xcnt 0x1
	v_lshl_add_u64 v[10:11], s[10:11], 1, v[10:11]
	s_wait_loadcnt 0x0
	v_lshl_add_u64 v[6:7], s[14:15], 1, v[6:7]
	s_delay_alu instid0(VALU_DEP_2) | instskip(NEXT) | instid1(VALU_DEP_2)
	v_lshl_add_u64 v[10:11], v[2:3], 1, v[10:11]
	v_lshl_add_u64 v[6:7], v[4:5], 1, v[6:7]
	flat_load_u16 v10, v[10:11]
	flat_load_u16 v8, v[6:7]
	s_wait_loadcnt_dscnt 0x101
	s_wait_xcnt 0x1
	v_lshlrev_b32_e32 v10, 16, v10
	s_delay_alu instid0(VALU_DEP_1) | instskip(NEXT) | instid1(VALU_DEP_1)
	v_mul_f32_e32 v9, v9, v10
	v_and_b32_e32 v10, 0x7f800000, v9
	s_delay_alu instid0(VALU_DEP_1) | instskip(SKIP_2) | instid1(SALU_CYCLE_1)
	v_cmp_ne_u32_e32 vcc_lo, 0x7f800000, v10
                                        ; implicit-def: $vgpr10
	s_wait_xcnt 0x0
	s_and_saveexec_b32 s16, vcc_lo
	s_xor_b32 s16, exec_lo, s16
; %bb.18:                               ;   in Loop: Header=BB176_5 Depth=1
	v_bfe_u32 v10, v9, 16, 1
	s_delay_alu instid0(VALU_DEP_1)
	v_add3_u32 v10, v9, v10, 0x7fff
                                        ; implicit-def: $vgpr9
; %bb.19:                               ;   in Loop: Header=BB176_5 Depth=1
	s_and_not1_saveexec_b32 s16, s16
; %bb.20:                               ;   in Loop: Header=BB176_5 Depth=1
	v_and_b32_e32 v10, 0xffff, v9
	v_or_b32_e32 v11, 0x10000, v9
	s_delay_alu instid0(VALU_DEP_2) | instskip(NEXT) | instid1(VALU_DEP_2)
	v_cmp_eq_u32_e32 vcc_lo, 0, v10
	v_cndmask_b32_e32 v10, v11, v9, vcc_lo
; %bb.21:                               ;   in Loop: Header=BB176_5 Depth=1
	s_or_b32 exec_lo, exec_lo, s16
	s_delay_alu instid0(VALU_DEP_1) | instskip(SKIP_2) | instid1(VALU_DEP_1)
	v_and_b32_e32 v9, 0xffff0000, v10
	s_wait_loadcnt_dscnt 0x0
	v_lshlrev_b32_e32 v8, 16, v8
	v_add_f32_e32 v8, v8, v9
	s_delay_alu instid0(VALU_DEP_1) | instskip(NEXT) | instid1(VALU_DEP_1)
	v_and_b32_e32 v9, 0x7f800000, v8
	v_cmp_ne_u32_e32 vcc_lo, 0x7f800000, v9
                                        ; implicit-def: $vgpr9
	s_and_saveexec_b32 s16, vcc_lo
	s_delay_alu instid0(SALU_CYCLE_1)
	s_xor_b32 s16, exec_lo, s16
; %bb.22:                               ;   in Loop: Header=BB176_5 Depth=1
	v_bfe_u32 v9, v8, 16, 1
	s_delay_alu instid0(VALU_DEP_1)
	v_add3_u32 v9, v8, v9, 0x7fff
                                        ; implicit-def: $vgpr8
; %bb.23:                               ;   in Loop: Header=BB176_5 Depth=1
	s_and_not1_saveexec_b32 s16, s16
; %bb.24:                               ;   in Loop: Header=BB176_5 Depth=1
	v_and_b32_e32 v9, 0xffff, v8
	v_or_b32_e32 v10, 0x10000, v8
	s_delay_alu instid0(VALU_DEP_2) | instskip(NEXT) | instid1(VALU_DEP_2)
	v_cmp_eq_u32_e32 vcc_lo, 0, v9
	v_cndmask_b32_e32 v9, v10, v8, vcc_lo
; %bb.25:                               ;   in Loop: Header=BB176_5 Depth=1
	s_or_b32 exec_lo, exec_lo, s16
	flat_store_d16_hi_b16 v[6:7], v9
.LBB176_26:                             ;   in Loop: Header=BB176_5 Depth=1
	s_wait_xcnt 0x0
	s_or_b32 exec_lo, exec_lo, s3
	v_add_nc_u32_e32 v6, 2, v0
	s_mov_b32 s3, exec_lo
	s_delay_alu instid0(VALU_DEP_1)
	v_cmpx_gt_u32_e64 s2, v6
	s_cbranch_execz .LBB176_37
; %bb.27:                               ;   in Loop: Header=BB176_5 Depth=1
	v_mov_b32_e32 v7, v1
	s_delay_alu instid0(VALU_DEP_1) | instskip(NEXT) | instid1(VALU_DEP_1)
	v_mul_u64_e32 v[6:7], s[6:7], v[6:7]
	v_lshl_add_u64 v[6:7], v[6:7], 2, s[4:5]
	global_load_b32 v9, v[6:7], off
	s_wait_loadcnt 0x0
	v_cmp_neq_f32_e32 vcc_lo, 0, v9
	s_wait_xcnt 0x0
	s_and_b32 exec_lo, exec_lo, vcc_lo
	s_cbranch_execz .LBB176_37
; %bb.28:                               ;   in Loop: Header=BB176_5 Depth=1
	v_lshlrev_b64_e32 v[6:7], 3, v[0:1]
	s_delay_alu instid0(VALU_DEP_1)
	v_add_nc_u64_e32 v[10:11], s[8:9], v[6:7]
	v_add_nc_u64_e32 v[6:7], s[12:13], v[6:7]
	global_load_b64 v[10:11], v[10:11], off offset:16
	global_load_b64 v[6:7], v[6:7], off offset:16
	s_wait_loadcnt 0x1
	s_wait_xcnt 0x1
	v_lshl_add_u64 v[10:11], s[10:11], 1, v[10:11]
	s_wait_loadcnt 0x0
	v_lshl_add_u64 v[6:7], s[14:15], 1, v[6:7]
	s_delay_alu instid0(VALU_DEP_2) | instskip(NEXT) | instid1(VALU_DEP_2)
	v_lshl_add_u64 v[10:11], v[2:3], 1, v[10:11]
	v_lshl_add_u64 v[6:7], v[4:5], 1, v[6:7]
	flat_load_u16 v10, v[10:11]
	flat_load_u16 v8, v[6:7]
	s_wait_loadcnt_dscnt 0x101
	s_wait_xcnt 0x1
	v_lshlrev_b32_e32 v10, 16, v10
	s_delay_alu instid0(VALU_DEP_1) | instskip(NEXT) | instid1(VALU_DEP_1)
	v_mul_f32_e32 v9, v9, v10
	v_and_b32_e32 v10, 0x7f800000, v9
	s_delay_alu instid0(VALU_DEP_1) | instskip(SKIP_2) | instid1(SALU_CYCLE_1)
	v_cmp_ne_u32_e32 vcc_lo, 0x7f800000, v10
                                        ; implicit-def: $vgpr10
	s_wait_xcnt 0x0
	s_and_saveexec_b32 s16, vcc_lo
	s_xor_b32 s16, exec_lo, s16
; %bb.29:                               ;   in Loop: Header=BB176_5 Depth=1
	v_bfe_u32 v10, v9, 16, 1
	s_delay_alu instid0(VALU_DEP_1)
	v_add3_u32 v10, v9, v10, 0x7fff
                                        ; implicit-def: $vgpr9
; %bb.30:                               ;   in Loop: Header=BB176_5 Depth=1
	s_and_not1_saveexec_b32 s16, s16
; %bb.31:                               ;   in Loop: Header=BB176_5 Depth=1
	v_and_b32_e32 v10, 0xffff, v9
	v_or_b32_e32 v11, 0x10000, v9
	s_delay_alu instid0(VALU_DEP_2) | instskip(NEXT) | instid1(VALU_DEP_2)
	v_cmp_eq_u32_e32 vcc_lo, 0, v10
	v_cndmask_b32_e32 v10, v11, v9, vcc_lo
; %bb.32:                               ;   in Loop: Header=BB176_5 Depth=1
	s_or_b32 exec_lo, exec_lo, s16
	s_delay_alu instid0(VALU_DEP_1) | instskip(SKIP_2) | instid1(VALU_DEP_1)
	v_and_b32_e32 v9, 0xffff0000, v10
	s_wait_loadcnt_dscnt 0x0
	v_lshlrev_b32_e32 v8, 16, v8
	v_add_f32_e32 v8, v8, v9
	s_delay_alu instid0(VALU_DEP_1) | instskip(NEXT) | instid1(VALU_DEP_1)
	v_and_b32_e32 v9, 0x7f800000, v8
	v_cmp_ne_u32_e32 vcc_lo, 0x7f800000, v9
                                        ; implicit-def: $vgpr9
	s_and_saveexec_b32 s16, vcc_lo
	s_delay_alu instid0(SALU_CYCLE_1)
	s_xor_b32 s16, exec_lo, s16
; %bb.33:                               ;   in Loop: Header=BB176_5 Depth=1
	v_bfe_u32 v9, v8, 16, 1
	s_delay_alu instid0(VALU_DEP_1)
	v_add3_u32 v9, v8, v9, 0x7fff
                                        ; implicit-def: $vgpr8
; %bb.34:                               ;   in Loop: Header=BB176_5 Depth=1
	s_and_not1_saveexec_b32 s16, s16
; %bb.35:                               ;   in Loop: Header=BB176_5 Depth=1
	v_and_b32_e32 v9, 0xffff, v8
	v_or_b32_e32 v10, 0x10000, v8
	s_delay_alu instid0(VALU_DEP_2) | instskip(NEXT) | instid1(VALU_DEP_2)
	v_cmp_eq_u32_e32 vcc_lo, 0, v9
	v_cndmask_b32_e32 v9, v10, v8, vcc_lo
; %bb.36:                               ;   in Loop: Header=BB176_5 Depth=1
	s_or_b32 exec_lo, exec_lo, s16
	flat_store_d16_hi_b16 v[6:7], v9
.LBB176_37:                             ;   in Loop: Header=BB176_5 Depth=1
	s_wait_xcnt 0x0
	s_or_b32 exec_lo, exec_lo, s3
	v_add_nc_u32_e32 v6, 3, v0
	s_mov_b32 s3, exec_lo
	s_delay_alu instid0(VALU_DEP_1)
	v_cmpx_gt_u32_e64 s2, v6
	s_cbranch_execz .LBB176_4
; %bb.38:                               ;   in Loop: Header=BB176_5 Depth=1
	v_mov_b32_e32 v7, v1
	s_delay_alu instid0(VALU_DEP_1) | instskip(NEXT) | instid1(VALU_DEP_1)
	v_mul_u64_e32 v[6:7], s[6:7], v[6:7]
	v_lshl_add_u64 v[6:7], v[6:7], 2, s[4:5]
	global_load_b32 v9, v[6:7], off
	s_wait_loadcnt 0x0
	v_cmp_neq_f32_e32 vcc_lo, 0, v9
	s_wait_xcnt 0x0
	s_and_b32 exec_lo, exec_lo, vcc_lo
	s_cbranch_execz .LBB176_4
; %bb.39:                               ;   in Loop: Header=BB176_5 Depth=1
	v_lshlrev_b64_e32 v[6:7], 3, v[0:1]
	s_delay_alu instid0(VALU_DEP_1)
	v_add_nc_u64_e32 v[10:11], s[8:9], v[6:7]
	v_add_nc_u64_e32 v[6:7], s[12:13], v[6:7]
	global_load_b64 v[10:11], v[10:11], off offset:24
	global_load_b64 v[6:7], v[6:7], off offset:24
	s_wait_loadcnt 0x1
	s_wait_xcnt 0x1
	v_lshl_add_u64 v[10:11], s[10:11], 1, v[10:11]
	s_wait_loadcnt 0x0
	v_lshl_add_u64 v[6:7], s[14:15], 1, v[6:7]
	s_delay_alu instid0(VALU_DEP_2) | instskip(NEXT) | instid1(VALU_DEP_2)
	v_lshl_add_u64 v[10:11], v[2:3], 1, v[10:11]
	v_lshl_add_u64 v[6:7], v[4:5], 1, v[6:7]
	flat_load_u16 v10, v[10:11]
	flat_load_u16 v8, v[6:7]
	s_wait_loadcnt_dscnt 0x101
	s_wait_xcnt 0x1
	v_lshlrev_b32_e32 v10, 16, v10
	s_delay_alu instid0(VALU_DEP_1) | instskip(NEXT) | instid1(VALU_DEP_1)
	v_mul_f32_e32 v9, v9, v10
	v_and_b32_e32 v10, 0x7f800000, v9
	s_delay_alu instid0(VALU_DEP_1) | instskip(SKIP_2) | instid1(SALU_CYCLE_1)
	v_cmp_ne_u32_e32 vcc_lo, 0x7f800000, v10
                                        ; implicit-def: $vgpr10
	s_wait_xcnt 0x0
	s_and_saveexec_b32 s16, vcc_lo
	s_xor_b32 s16, exec_lo, s16
; %bb.40:                               ;   in Loop: Header=BB176_5 Depth=1
	v_bfe_u32 v10, v9, 16, 1
	s_delay_alu instid0(VALU_DEP_1)
	v_add3_u32 v10, v9, v10, 0x7fff
                                        ; implicit-def: $vgpr9
; %bb.41:                               ;   in Loop: Header=BB176_5 Depth=1
	s_and_not1_saveexec_b32 s16, s16
; %bb.42:                               ;   in Loop: Header=BB176_5 Depth=1
	v_and_b32_e32 v10, 0xffff, v9
	v_or_b32_e32 v11, 0x10000, v9
	s_delay_alu instid0(VALU_DEP_2) | instskip(NEXT) | instid1(VALU_DEP_2)
	v_cmp_eq_u32_e32 vcc_lo, 0, v10
	v_cndmask_b32_e32 v10, v11, v9, vcc_lo
; %bb.43:                               ;   in Loop: Header=BB176_5 Depth=1
	s_or_b32 exec_lo, exec_lo, s16
	s_delay_alu instid0(VALU_DEP_1) | instskip(SKIP_2) | instid1(VALU_DEP_1)
	v_and_b32_e32 v9, 0xffff0000, v10
	s_wait_loadcnt_dscnt 0x0
	v_lshlrev_b32_e32 v8, 16, v8
	v_add_f32_e32 v8, v8, v9
	s_delay_alu instid0(VALU_DEP_1) | instskip(NEXT) | instid1(VALU_DEP_1)
	v_and_b32_e32 v9, 0x7f800000, v8
	v_cmp_ne_u32_e32 vcc_lo, 0x7f800000, v9
                                        ; implicit-def: $vgpr9
	s_and_saveexec_b32 s16, vcc_lo
	s_delay_alu instid0(SALU_CYCLE_1)
	s_xor_b32 s16, exec_lo, s16
; %bb.44:                               ;   in Loop: Header=BB176_5 Depth=1
	v_bfe_u32 v9, v8, 16, 1
	s_delay_alu instid0(VALU_DEP_1)
	v_add3_u32 v9, v8, v9, 0x7fff
                                        ; implicit-def: $vgpr8
; %bb.45:                               ;   in Loop: Header=BB176_5 Depth=1
	s_and_not1_saveexec_b32 s16, s16
	s_cbranch_execz .LBB176_3
; %bb.46:                               ;   in Loop: Header=BB176_5 Depth=1
	v_and_b32_e32 v9, 0xffff, v8
	v_or_b32_e32 v10, 0x10000, v8
	s_delay_alu instid0(VALU_DEP_2) | instskip(NEXT) | instid1(VALU_DEP_2)
	v_cmp_eq_u32_e32 vcc_lo, 0, v9
	v_cndmask_b32_e32 v9, v10, v8, vcc_lo
	s_branch .LBB176_3
.LBB176_47:
	s_endpgm
	.section	.rodata,"a",@progbits
	.p2align	6, 0x0
	.amdhsa_kernel _ZL27rocblas_axpy_kernel_batchedIiLi128ELi8EfPKfPKPK16rocblas_bfloat16PKPS2_EviT3_lT4_lT_lT5_lSC_li
		.amdhsa_group_segment_fixed_size 0
		.amdhsa_private_segment_fixed_size 0
		.amdhsa_kernarg_size 352
		.amdhsa_user_sgpr_count 2
		.amdhsa_user_sgpr_dispatch_ptr 0
		.amdhsa_user_sgpr_queue_ptr 0
		.amdhsa_user_sgpr_kernarg_segment_ptr 1
		.amdhsa_user_sgpr_dispatch_id 0
		.amdhsa_user_sgpr_kernarg_preload_length 0
		.amdhsa_user_sgpr_kernarg_preload_offset 0
		.amdhsa_user_sgpr_private_segment_size 0
		.amdhsa_wavefront_size32 1
		.amdhsa_uses_dynamic_stack 0
		.amdhsa_enable_private_segment 0
		.amdhsa_system_sgpr_workgroup_id_x 1
		.amdhsa_system_sgpr_workgroup_id_y 0
		.amdhsa_system_sgpr_workgroup_id_z 1
		.amdhsa_system_sgpr_workgroup_info 0
		.amdhsa_system_vgpr_workitem_id 1
		.amdhsa_next_free_vgpr 12
		.amdhsa_next_free_sgpr 17
		.amdhsa_named_barrier_count 0
		.amdhsa_reserve_vcc 1
		.amdhsa_float_round_mode_32 0
		.amdhsa_float_round_mode_16_64 0
		.amdhsa_float_denorm_mode_32 3
		.amdhsa_float_denorm_mode_16_64 3
		.amdhsa_fp16_overflow 0
		.amdhsa_memory_ordered 1
		.amdhsa_forward_progress 1
		.amdhsa_inst_pref_size 16
		.amdhsa_round_robin_scheduling 0
		.amdhsa_exception_fp_ieee_invalid_op 0
		.amdhsa_exception_fp_denorm_src 0
		.amdhsa_exception_fp_ieee_div_zero 0
		.amdhsa_exception_fp_ieee_overflow 0
		.amdhsa_exception_fp_ieee_underflow 0
		.amdhsa_exception_fp_ieee_inexact 0
		.amdhsa_exception_int_div_zero 0
	.end_amdhsa_kernel
	.section	.text._ZL27rocblas_axpy_kernel_batchedIiLi128ELi8EfPKfPKPK16rocblas_bfloat16PKPS2_EviT3_lT4_lT_lT5_lSC_li,"axG",@progbits,_ZL27rocblas_axpy_kernel_batchedIiLi128ELi8EfPKfPKPK16rocblas_bfloat16PKPS2_EviT3_lT4_lT_lT5_lSC_li,comdat
.Lfunc_end176:
	.size	_ZL27rocblas_axpy_kernel_batchedIiLi128ELi8EfPKfPKPK16rocblas_bfloat16PKPS2_EviT3_lT4_lT_lT5_lSC_li, .Lfunc_end176-_ZL27rocblas_axpy_kernel_batchedIiLi128ELi8EfPKfPKPK16rocblas_bfloat16PKPS2_EviT3_lT4_lT_lT5_lSC_li
                                        ; -- End function
	.set _ZL27rocblas_axpy_kernel_batchedIiLi128ELi8EfPKfPKPK16rocblas_bfloat16PKPS2_EviT3_lT4_lT_lT5_lSC_li.num_vgpr, 12
	.set _ZL27rocblas_axpy_kernel_batchedIiLi128ELi8EfPKfPKPK16rocblas_bfloat16PKPS2_EviT3_lT4_lT_lT5_lSC_li.num_agpr, 0
	.set _ZL27rocblas_axpy_kernel_batchedIiLi128ELi8EfPKfPKPK16rocblas_bfloat16PKPS2_EviT3_lT4_lT_lT5_lSC_li.numbered_sgpr, 17
	.set _ZL27rocblas_axpy_kernel_batchedIiLi128ELi8EfPKfPKPK16rocblas_bfloat16PKPS2_EviT3_lT4_lT_lT5_lSC_li.num_named_barrier, 0
	.set _ZL27rocblas_axpy_kernel_batchedIiLi128ELi8EfPKfPKPK16rocblas_bfloat16PKPS2_EviT3_lT4_lT_lT5_lSC_li.private_seg_size, 0
	.set _ZL27rocblas_axpy_kernel_batchedIiLi128ELi8EfPKfPKPK16rocblas_bfloat16PKPS2_EviT3_lT4_lT_lT5_lSC_li.uses_vcc, 1
	.set _ZL27rocblas_axpy_kernel_batchedIiLi128ELi8EfPKfPKPK16rocblas_bfloat16PKPS2_EviT3_lT4_lT_lT5_lSC_li.uses_flat_scratch, 0
	.set _ZL27rocblas_axpy_kernel_batchedIiLi128ELi8EfPKfPKPK16rocblas_bfloat16PKPS2_EviT3_lT4_lT_lT5_lSC_li.has_dyn_sized_stack, 0
	.set _ZL27rocblas_axpy_kernel_batchedIiLi128ELi8EfPKfPKPK16rocblas_bfloat16PKPS2_EviT3_lT4_lT_lT5_lSC_li.has_recursion, 0
	.set _ZL27rocblas_axpy_kernel_batchedIiLi128ELi8EfPKfPKPK16rocblas_bfloat16PKPS2_EviT3_lT4_lT_lT5_lSC_li.has_indirect_call, 0
	.section	.AMDGPU.csdata,"",@progbits
; Kernel info:
; codeLenInByte = 2028
; TotalNumSgprs: 19
; NumVgprs: 12
; ScratchSize: 0
; MemoryBound: 0
; FloatMode: 240
; IeeeMode: 1
; LDSByteSize: 0 bytes/workgroup (compile time only)
; SGPRBlocks: 0
; VGPRBlocks: 0
; NumSGPRsForWavesPerEU: 19
; NumVGPRsForWavesPerEU: 12
; NamedBarCnt: 0
; Occupancy: 16
; WaveLimiterHint : 1
; COMPUTE_PGM_RSRC2:SCRATCH_EN: 0
; COMPUTE_PGM_RSRC2:USER_SGPR: 2
; COMPUTE_PGM_RSRC2:TRAP_HANDLER: 0
; COMPUTE_PGM_RSRC2:TGID_X_EN: 1
; COMPUTE_PGM_RSRC2:TGID_Y_EN: 0
; COMPUTE_PGM_RSRC2:TGID_Z_EN: 1
; COMPUTE_PGM_RSRC2:TIDIG_COMP_CNT: 1
	.section	.text._ZL27rocblas_axpy_kernel_batchedIiLi128ELi8EffPKPK16rocblas_bfloat16PKPS0_EviT3_lT4_lT_lT5_lSA_li,"axG",@progbits,_ZL27rocblas_axpy_kernel_batchedIiLi128ELi8EffPKPK16rocblas_bfloat16PKPS0_EviT3_lT4_lT_lT5_lSA_li,comdat
	.globl	_ZL27rocblas_axpy_kernel_batchedIiLi128ELi8EffPKPK16rocblas_bfloat16PKPS0_EviT3_lT4_lT_lT5_lSA_li ; -- Begin function _ZL27rocblas_axpy_kernel_batchedIiLi128ELi8EffPKPK16rocblas_bfloat16PKPS0_EviT3_lT4_lT_lT5_lSA_li
	.p2align	8
	.type	_ZL27rocblas_axpy_kernel_batchedIiLi128ELi8EffPKPK16rocblas_bfloat16PKPS0_EviT3_lT4_lT_lT5_lSA_li,@function
_ZL27rocblas_axpy_kernel_batchedIiLi128ELi8EffPKPK16rocblas_bfloat16PKPS0_EviT3_lT4_lT_lT5_lSA_li: ; @_ZL27rocblas_axpy_kernel_batchedIiLi128ELi8EffPKPK16rocblas_bfloat16PKPS0_EviT3_lT4_lT_lT5_lSA_li
; %bb.0:
	s_load_b64 s[2:3], s[0:1], 0x0
	s_bfe_u32 s4, ttmp6, 0x4000c
	s_and_b32 s5, ttmp6, 15
	s_add_co_i32 s6, s4, 1
	s_getreg_b32 s4, hwreg(HW_REG_IB_STS2, 6, 4)
	s_mul_i32 s6, ttmp9, s6
	v_and_b32_e32 v1, 0x3ff, v0
	s_add_co_i32 s5, s5, s6
	s_cmp_eq_u32 s4, 0
	v_mov_b32_e32 v3, 0
	s_cselect_b32 s5, ttmp9, s5
	s_delay_alu instid0(SALU_CYCLE_1)
	v_lshl_add_u32 v2, s5, 7, v1
	s_wait_kmcnt 0x0
	s_ashr_i32 s7, s2, 31
	s_mov_b32 s6, s2
	s_mov_b32 s2, exec_lo
	v_cmpx_gt_i64_e64 s[6:7], v[2:3]
	s_cbranch_execz .LBB177_44
; %bb.1:
	s_load_b32 s2, s[0:1], 0x50
	s_bfe_u32 s5, ttmp6, 0x40014
	v_lshrrev_b32_e32 v0, 8, v0
	s_lshr_b32 s6, ttmp7, 16
	s_add_co_i32 s5, s5, 1
	s_bfe_u32 s7, ttmp6, 0x40008
	s_mul_i32 s5, s6, s5
	v_and_b32_e32 v0, 0xffc, v0
	s_add_co_i32 s7, s7, s5
	s_cmp_eq_u32 s4, 0
	s_cselect_b32 s4, s6, s7
	s_delay_alu instid0(VALU_DEP_1) | instid1(SALU_CYCLE_1)
	v_lshl_add_u32 v6, s4, 5, v0
	s_wait_kmcnt 0x0
	s_delay_alu instid0(VALU_DEP_1)
	v_cmp_gt_u32_e32 vcc_lo, s2, v6
	s_and_b32 exec_lo, exec_lo, vcc_lo
	s_cbranch_execz .LBB177_44
; %bb.2:
	s_clause 0x2
	s_load_b32 s4, s[0:1], 0x20
	s_load_b32 s6, s[0:1], 0x40
	;; [unrolled: 1-line block ×3, first 2 shown]
	s_wait_kmcnt 0x0
	s_ashr_i32 s5, s4, 31
	s_ashr_i32 s7, s6, 31
	v_mul_u64_e32 v[0:1], s[4:5], v[2:3]
	v_mul_u64_e32 v[2:3], s[6:7], v[2:3]
	s_clause 0x1
	s_load_b128 s[4:7], s[0:1], 0x10
	s_load_b128 s[8:11], s[0:1], 0x30
	s_cmp_neq_f32 s3, 0
	s_wait_xcnt 0x0
	s_mov_b32 s1, 0
	s_cselect_b32 s0, -1, 0
	s_lshl_b32 s12, s12, 5
	s_branch .LBB177_5
.LBB177_3:                              ;   in Loop: Header=BB177_5 Depth=1
	s_or_b32 exec_lo, exec_lo, s14
	flat_store_d16_hi_b16 v[4:5], v8
.LBB177_4:                              ;   in Loop: Header=BB177_5 Depth=1
	s_wait_xcnt 0x0
	s_or_b32 exec_lo, exec_lo, s13
	v_add_nc_u32_e32 v6, s12, v6
	s_delay_alu instid0(VALU_DEP_1) | instskip(SKIP_1) | instid1(SALU_CYCLE_1)
	v_cmp_le_u32_e32 vcc_lo, s2, v6
	s_or_b32 s1, vcc_lo, s1
	s_and_not1_b32 exec_lo, exec_lo, s1
	s_cbranch_execz .LBB177_44
.LBB177_5:                              ; =>This Inner Loop Header: Depth=1
	s_and_not1_b32 vcc_lo, exec_lo, s0
	s_cbranch_vccnz .LBB177_15
; %bb.6:                                ;   in Loop: Header=BB177_5 Depth=1
	s_wait_kmcnt 0x0
	s_clause 0x1
	global_load_b64 v[4:5], v6, s[4:5] scale_offset
	global_load_b64 v[8:9], v6, s[8:9] scale_offset
	s_wait_loadcnt 0x1
	v_lshl_add_u64 v[4:5], s[6:7], 1, v[4:5]
	s_delay_alu instid0(VALU_DEP_1) | instskip(SKIP_4) | instid1(VALU_DEP_1)
	v_lshl_add_u64 v[4:5], v[0:1], 1, v[4:5]
	flat_load_u16 v10, v[4:5]
	s_wait_loadcnt 0x1
	s_wait_xcnt 0x0
	v_lshl_add_u64 v[4:5], s[10:11], 1, v[8:9]
	v_lshl_add_u64 v[4:5], v[2:3], 1, v[4:5]
	flat_load_u16 v7, v[4:5]
	s_wait_loadcnt_dscnt 0x101
	v_lshlrev_b32_e32 v8, 16, v10
	s_delay_alu instid0(VALU_DEP_1) | instskip(NEXT) | instid1(VALU_DEP_1)
	v_mul_f32_e32 v8, s3, v8
	v_and_b32_e32 v9, 0x7f800000, v8
	s_delay_alu instid0(VALU_DEP_1) | instskip(SKIP_2) | instid1(SALU_CYCLE_1)
	v_cmp_ne_u32_e32 vcc_lo, 0x7f800000, v9
                                        ; implicit-def: $vgpr9
	s_wait_xcnt 0x0
	s_and_saveexec_b32 s13, vcc_lo
	s_xor_b32 s13, exec_lo, s13
; %bb.7:                                ;   in Loop: Header=BB177_5 Depth=1
	v_bfe_u32 v9, v8, 16, 1
	s_delay_alu instid0(VALU_DEP_1)
	v_add3_u32 v9, v8, v9, 0x7fff
                                        ; implicit-def: $vgpr8
; %bb.8:                                ;   in Loop: Header=BB177_5 Depth=1
	s_and_not1_saveexec_b32 s13, s13
; %bb.9:                                ;   in Loop: Header=BB177_5 Depth=1
	v_and_b32_e32 v9, 0xffff, v8
	v_or_b32_e32 v10, 0x10000, v8
	s_delay_alu instid0(VALU_DEP_2) | instskip(NEXT) | instid1(VALU_DEP_2)
	v_cmp_eq_u32_e32 vcc_lo, 0, v9
	v_cndmask_b32_e32 v9, v10, v8, vcc_lo
; %bb.10:                               ;   in Loop: Header=BB177_5 Depth=1
	s_or_b32 exec_lo, exec_lo, s13
	s_delay_alu instid0(VALU_DEP_1) | instskip(SKIP_2) | instid1(VALU_DEP_1)
	v_and_b32_e32 v8, 0xffff0000, v9
	s_wait_loadcnt_dscnt 0x0
	v_lshlrev_b32_e32 v7, 16, v7
	v_add_f32_e32 v7, v7, v8
	s_delay_alu instid0(VALU_DEP_1) | instskip(NEXT) | instid1(VALU_DEP_1)
	v_and_b32_e32 v8, 0x7f800000, v7
	v_cmp_ne_u32_e32 vcc_lo, 0x7f800000, v8
                                        ; implicit-def: $vgpr8
	s_and_saveexec_b32 s13, vcc_lo
	s_delay_alu instid0(SALU_CYCLE_1)
	s_xor_b32 s13, exec_lo, s13
; %bb.11:                               ;   in Loop: Header=BB177_5 Depth=1
	v_bfe_u32 v8, v7, 16, 1
	s_delay_alu instid0(VALU_DEP_1)
	v_add3_u32 v8, v7, v8, 0x7fff
                                        ; implicit-def: $vgpr7
; %bb.12:                               ;   in Loop: Header=BB177_5 Depth=1
	s_and_not1_saveexec_b32 s13, s13
; %bb.13:                               ;   in Loop: Header=BB177_5 Depth=1
	v_and_b32_e32 v8, 0xffff, v7
	v_or_b32_e32 v9, 0x10000, v7
	s_delay_alu instid0(VALU_DEP_2) | instskip(NEXT) | instid1(VALU_DEP_2)
	v_cmp_eq_u32_e32 vcc_lo, 0, v8
	v_cndmask_b32_e32 v8, v9, v7, vcc_lo
; %bb.14:                               ;   in Loop: Header=BB177_5 Depth=1
	s_or_b32 exec_lo, exec_lo, s13
	flat_store_d16_hi_b16 v[4:5], v8
.LBB177_15:                             ;   in Loop: Header=BB177_5 Depth=1
	s_wait_xcnt 0x0
	v_add_nc_u32_e32 v4, 1, v6
	s_delay_alu instid0(VALU_DEP_1) | instskip(SKIP_1) | instid1(SALU_CYCLE_1)
	v_cmp_gt_u32_e32 vcc_lo, s2, v4
	s_and_b32 s14, s0, vcc_lo
	s_and_saveexec_b32 s13, s14
	s_cbranch_execz .LBB177_25
; %bb.16:                               ;   in Loop: Header=BB177_5 Depth=1
	s_wait_kmcnt 0x0
	s_clause 0x1
	global_load_b64 v[4:5], v6, s[4:5] offset:8 scale_offset
	global_load_b64 v[8:9], v6, s[8:9] offset:8 scale_offset
	s_wait_loadcnt 0x1
	v_lshl_add_u64 v[4:5], s[6:7], 1, v[4:5]
	s_delay_alu instid0(VALU_DEP_1) | instskip(SKIP_4) | instid1(VALU_DEP_1)
	v_lshl_add_u64 v[4:5], v[0:1], 1, v[4:5]
	flat_load_u16 v10, v[4:5]
	s_wait_loadcnt 0x1
	s_wait_xcnt 0x0
	v_lshl_add_u64 v[4:5], s[10:11], 1, v[8:9]
	v_lshl_add_u64 v[4:5], v[2:3], 1, v[4:5]
	flat_load_u16 v7, v[4:5]
	s_wait_loadcnt_dscnt 0x101
	v_lshlrev_b32_e32 v8, 16, v10
	s_delay_alu instid0(VALU_DEP_1) | instskip(NEXT) | instid1(VALU_DEP_1)
	v_mul_f32_e32 v8, s3, v8
	v_and_b32_e32 v9, 0x7f800000, v8
	s_delay_alu instid0(VALU_DEP_1) | instskip(SKIP_2) | instid1(SALU_CYCLE_1)
	v_cmp_ne_u32_e32 vcc_lo, 0x7f800000, v9
                                        ; implicit-def: $vgpr9
	s_wait_xcnt 0x0
	s_and_saveexec_b32 s14, vcc_lo
	s_xor_b32 s14, exec_lo, s14
; %bb.17:                               ;   in Loop: Header=BB177_5 Depth=1
	v_bfe_u32 v9, v8, 16, 1
	s_delay_alu instid0(VALU_DEP_1)
	v_add3_u32 v9, v8, v9, 0x7fff
                                        ; implicit-def: $vgpr8
; %bb.18:                               ;   in Loop: Header=BB177_5 Depth=1
	s_and_not1_saveexec_b32 s14, s14
; %bb.19:                               ;   in Loop: Header=BB177_5 Depth=1
	v_and_b32_e32 v9, 0xffff, v8
	v_or_b32_e32 v10, 0x10000, v8
	s_delay_alu instid0(VALU_DEP_2) | instskip(NEXT) | instid1(VALU_DEP_2)
	v_cmp_eq_u32_e32 vcc_lo, 0, v9
	v_cndmask_b32_e32 v9, v10, v8, vcc_lo
; %bb.20:                               ;   in Loop: Header=BB177_5 Depth=1
	s_or_b32 exec_lo, exec_lo, s14
	s_delay_alu instid0(VALU_DEP_1) | instskip(SKIP_2) | instid1(VALU_DEP_1)
	v_and_b32_e32 v8, 0xffff0000, v9
	s_wait_loadcnt_dscnt 0x0
	v_lshlrev_b32_e32 v7, 16, v7
	v_add_f32_e32 v7, v7, v8
	s_delay_alu instid0(VALU_DEP_1) | instskip(NEXT) | instid1(VALU_DEP_1)
	v_and_b32_e32 v8, 0x7f800000, v7
	v_cmp_ne_u32_e32 vcc_lo, 0x7f800000, v8
                                        ; implicit-def: $vgpr8
	s_and_saveexec_b32 s14, vcc_lo
	s_delay_alu instid0(SALU_CYCLE_1)
	s_xor_b32 s14, exec_lo, s14
; %bb.21:                               ;   in Loop: Header=BB177_5 Depth=1
	v_bfe_u32 v8, v7, 16, 1
	s_delay_alu instid0(VALU_DEP_1)
	v_add3_u32 v8, v7, v8, 0x7fff
                                        ; implicit-def: $vgpr7
; %bb.22:                               ;   in Loop: Header=BB177_5 Depth=1
	s_and_not1_saveexec_b32 s14, s14
; %bb.23:                               ;   in Loop: Header=BB177_5 Depth=1
	v_and_b32_e32 v8, 0xffff, v7
	v_or_b32_e32 v9, 0x10000, v7
	s_delay_alu instid0(VALU_DEP_2) | instskip(NEXT) | instid1(VALU_DEP_2)
	v_cmp_eq_u32_e32 vcc_lo, 0, v8
	v_cndmask_b32_e32 v8, v9, v7, vcc_lo
; %bb.24:                               ;   in Loop: Header=BB177_5 Depth=1
	s_or_b32 exec_lo, exec_lo, s14
	flat_store_d16_hi_b16 v[4:5], v8
.LBB177_25:                             ;   in Loop: Header=BB177_5 Depth=1
	s_wait_xcnt 0x0
	s_or_b32 exec_lo, exec_lo, s13
	v_add_nc_u32_e32 v4, 2, v6
	s_delay_alu instid0(VALU_DEP_1) | instskip(SKIP_1) | instid1(SALU_CYCLE_1)
	v_cmp_gt_u32_e32 vcc_lo, s2, v4
	s_and_b32 s14, s0, vcc_lo
	s_and_saveexec_b32 s13, s14
	s_cbranch_execz .LBB177_35
; %bb.26:                               ;   in Loop: Header=BB177_5 Depth=1
	s_wait_kmcnt 0x0
	s_clause 0x1
	global_load_b64 v[4:5], v6, s[4:5] offset:16 scale_offset
	global_load_b64 v[8:9], v6, s[8:9] offset:16 scale_offset
	s_wait_loadcnt 0x1
	v_lshl_add_u64 v[4:5], s[6:7], 1, v[4:5]
	s_delay_alu instid0(VALU_DEP_1) | instskip(SKIP_4) | instid1(VALU_DEP_1)
	v_lshl_add_u64 v[4:5], v[0:1], 1, v[4:5]
	flat_load_u16 v10, v[4:5]
	s_wait_loadcnt 0x1
	s_wait_xcnt 0x0
	v_lshl_add_u64 v[4:5], s[10:11], 1, v[8:9]
	v_lshl_add_u64 v[4:5], v[2:3], 1, v[4:5]
	flat_load_u16 v7, v[4:5]
	s_wait_loadcnt_dscnt 0x101
	v_lshlrev_b32_e32 v8, 16, v10
	s_delay_alu instid0(VALU_DEP_1) | instskip(NEXT) | instid1(VALU_DEP_1)
	v_mul_f32_e32 v8, s3, v8
	v_and_b32_e32 v9, 0x7f800000, v8
	s_delay_alu instid0(VALU_DEP_1) | instskip(SKIP_2) | instid1(SALU_CYCLE_1)
	v_cmp_ne_u32_e32 vcc_lo, 0x7f800000, v9
                                        ; implicit-def: $vgpr9
	s_wait_xcnt 0x0
	s_and_saveexec_b32 s14, vcc_lo
	s_xor_b32 s14, exec_lo, s14
; %bb.27:                               ;   in Loop: Header=BB177_5 Depth=1
	v_bfe_u32 v9, v8, 16, 1
	s_delay_alu instid0(VALU_DEP_1)
	v_add3_u32 v9, v8, v9, 0x7fff
                                        ; implicit-def: $vgpr8
; %bb.28:                               ;   in Loop: Header=BB177_5 Depth=1
	s_and_not1_saveexec_b32 s14, s14
; %bb.29:                               ;   in Loop: Header=BB177_5 Depth=1
	v_and_b32_e32 v9, 0xffff, v8
	v_or_b32_e32 v10, 0x10000, v8
	s_delay_alu instid0(VALU_DEP_2) | instskip(NEXT) | instid1(VALU_DEP_2)
	v_cmp_eq_u32_e32 vcc_lo, 0, v9
	v_cndmask_b32_e32 v9, v10, v8, vcc_lo
; %bb.30:                               ;   in Loop: Header=BB177_5 Depth=1
	s_or_b32 exec_lo, exec_lo, s14
	s_delay_alu instid0(VALU_DEP_1) | instskip(SKIP_2) | instid1(VALU_DEP_1)
	v_and_b32_e32 v8, 0xffff0000, v9
	s_wait_loadcnt_dscnt 0x0
	v_lshlrev_b32_e32 v7, 16, v7
	v_add_f32_e32 v7, v7, v8
	s_delay_alu instid0(VALU_DEP_1) | instskip(NEXT) | instid1(VALU_DEP_1)
	v_and_b32_e32 v8, 0x7f800000, v7
	v_cmp_ne_u32_e32 vcc_lo, 0x7f800000, v8
                                        ; implicit-def: $vgpr8
	s_and_saveexec_b32 s14, vcc_lo
	s_delay_alu instid0(SALU_CYCLE_1)
	s_xor_b32 s14, exec_lo, s14
; %bb.31:                               ;   in Loop: Header=BB177_5 Depth=1
	v_bfe_u32 v8, v7, 16, 1
	s_delay_alu instid0(VALU_DEP_1)
	v_add3_u32 v8, v7, v8, 0x7fff
                                        ; implicit-def: $vgpr7
; %bb.32:                               ;   in Loop: Header=BB177_5 Depth=1
	s_and_not1_saveexec_b32 s14, s14
; %bb.33:                               ;   in Loop: Header=BB177_5 Depth=1
	v_and_b32_e32 v8, 0xffff, v7
	v_or_b32_e32 v9, 0x10000, v7
	s_delay_alu instid0(VALU_DEP_2) | instskip(NEXT) | instid1(VALU_DEP_2)
	v_cmp_eq_u32_e32 vcc_lo, 0, v8
	v_cndmask_b32_e32 v8, v9, v7, vcc_lo
; %bb.34:                               ;   in Loop: Header=BB177_5 Depth=1
	s_or_b32 exec_lo, exec_lo, s14
	flat_store_d16_hi_b16 v[4:5], v8
.LBB177_35:                             ;   in Loop: Header=BB177_5 Depth=1
	s_wait_xcnt 0x0
	s_or_b32 exec_lo, exec_lo, s13
	v_add_nc_u32_e32 v4, 3, v6
	s_delay_alu instid0(VALU_DEP_1) | instskip(SKIP_1) | instid1(SALU_CYCLE_1)
	v_cmp_gt_u32_e32 vcc_lo, s2, v4
	s_and_b32 s14, s0, vcc_lo
	s_and_saveexec_b32 s13, s14
	s_cbranch_execz .LBB177_4
; %bb.36:                               ;   in Loop: Header=BB177_5 Depth=1
	s_wait_kmcnt 0x0
	s_clause 0x1
	global_load_b64 v[4:5], v6, s[4:5] offset:24 scale_offset
	global_load_b64 v[8:9], v6, s[8:9] offset:24 scale_offset
	s_wait_loadcnt 0x1
	v_lshl_add_u64 v[4:5], s[6:7], 1, v[4:5]
	s_delay_alu instid0(VALU_DEP_1) | instskip(SKIP_4) | instid1(VALU_DEP_1)
	v_lshl_add_u64 v[4:5], v[0:1], 1, v[4:5]
	flat_load_u16 v10, v[4:5]
	s_wait_loadcnt 0x1
	s_wait_xcnt 0x0
	v_lshl_add_u64 v[4:5], s[10:11], 1, v[8:9]
	v_lshl_add_u64 v[4:5], v[2:3], 1, v[4:5]
	flat_load_u16 v7, v[4:5]
	s_wait_loadcnt_dscnt 0x101
	v_lshlrev_b32_e32 v8, 16, v10
	s_delay_alu instid0(VALU_DEP_1) | instskip(NEXT) | instid1(VALU_DEP_1)
	v_mul_f32_e32 v8, s3, v8
	v_and_b32_e32 v9, 0x7f800000, v8
	s_delay_alu instid0(VALU_DEP_1) | instskip(SKIP_2) | instid1(SALU_CYCLE_1)
	v_cmp_ne_u32_e32 vcc_lo, 0x7f800000, v9
                                        ; implicit-def: $vgpr9
	s_wait_xcnt 0x0
	s_and_saveexec_b32 s14, vcc_lo
	s_xor_b32 s14, exec_lo, s14
; %bb.37:                               ;   in Loop: Header=BB177_5 Depth=1
	v_bfe_u32 v9, v8, 16, 1
	s_delay_alu instid0(VALU_DEP_1)
	v_add3_u32 v9, v8, v9, 0x7fff
                                        ; implicit-def: $vgpr8
; %bb.38:                               ;   in Loop: Header=BB177_5 Depth=1
	s_and_not1_saveexec_b32 s14, s14
; %bb.39:                               ;   in Loop: Header=BB177_5 Depth=1
	v_and_b32_e32 v9, 0xffff, v8
	v_or_b32_e32 v10, 0x10000, v8
	s_delay_alu instid0(VALU_DEP_2) | instskip(NEXT) | instid1(VALU_DEP_2)
	v_cmp_eq_u32_e32 vcc_lo, 0, v9
	v_cndmask_b32_e32 v9, v10, v8, vcc_lo
; %bb.40:                               ;   in Loop: Header=BB177_5 Depth=1
	s_or_b32 exec_lo, exec_lo, s14
	s_delay_alu instid0(VALU_DEP_1) | instskip(SKIP_2) | instid1(VALU_DEP_1)
	v_and_b32_e32 v8, 0xffff0000, v9
	s_wait_loadcnt_dscnt 0x0
	v_lshlrev_b32_e32 v7, 16, v7
	v_add_f32_e32 v7, v7, v8
	s_delay_alu instid0(VALU_DEP_1) | instskip(NEXT) | instid1(VALU_DEP_1)
	v_and_b32_e32 v8, 0x7f800000, v7
	v_cmp_ne_u32_e32 vcc_lo, 0x7f800000, v8
                                        ; implicit-def: $vgpr8
	s_and_saveexec_b32 s14, vcc_lo
	s_delay_alu instid0(SALU_CYCLE_1)
	s_xor_b32 s14, exec_lo, s14
; %bb.41:                               ;   in Loop: Header=BB177_5 Depth=1
	v_bfe_u32 v8, v7, 16, 1
	s_delay_alu instid0(VALU_DEP_1)
	v_add3_u32 v8, v7, v8, 0x7fff
                                        ; implicit-def: $vgpr7
; %bb.42:                               ;   in Loop: Header=BB177_5 Depth=1
	s_and_not1_saveexec_b32 s14, s14
	s_cbranch_execz .LBB177_3
; %bb.43:                               ;   in Loop: Header=BB177_5 Depth=1
	v_and_b32_e32 v8, 0xffff, v7
	v_or_b32_e32 v9, 0x10000, v7
	s_delay_alu instid0(VALU_DEP_2) | instskip(NEXT) | instid1(VALU_DEP_2)
	v_cmp_eq_u32_e32 vcc_lo, 0, v8
	v_cndmask_b32_e32 v8, v9, v7, vcc_lo
	s_branch .LBB177_3
.LBB177_44:
	s_endpgm
	.section	.rodata,"a",@progbits
	.p2align	6, 0x0
	.amdhsa_kernel _ZL27rocblas_axpy_kernel_batchedIiLi128ELi8EffPKPK16rocblas_bfloat16PKPS0_EviT3_lT4_lT_lT5_lSA_li
		.amdhsa_group_segment_fixed_size 0
		.amdhsa_private_segment_fixed_size 0
		.amdhsa_kernarg_size 344
		.amdhsa_user_sgpr_count 2
		.amdhsa_user_sgpr_dispatch_ptr 0
		.amdhsa_user_sgpr_queue_ptr 0
		.amdhsa_user_sgpr_kernarg_segment_ptr 1
		.amdhsa_user_sgpr_dispatch_id 0
		.amdhsa_user_sgpr_kernarg_preload_length 0
		.amdhsa_user_sgpr_kernarg_preload_offset 0
		.amdhsa_user_sgpr_private_segment_size 0
		.amdhsa_wavefront_size32 1
		.amdhsa_uses_dynamic_stack 0
		.amdhsa_enable_private_segment 0
		.amdhsa_system_sgpr_workgroup_id_x 1
		.amdhsa_system_sgpr_workgroup_id_y 0
		.amdhsa_system_sgpr_workgroup_id_z 1
		.amdhsa_system_sgpr_workgroup_info 0
		.amdhsa_system_vgpr_workitem_id 1
		.amdhsa_next_free_vgpr 11
		.amdhsa_next_free_sgpr 15
		.amdhsa_named_barrier_count 0
		.amdhsa_reserve_vcc 1
		.amdhsa_float_round_mode_32 0
		.amdhsa_float_round_mode_16_64 0
		.amdhsa_float_denorm_mode_32 3
		.amdhsa_float_denorm_mode_16_64 3
		.amdhsa_fp16_overflow 0
		.amdhsa_memory_ordered 1
		.amdhsa_forward_progress 1
		.amdhsa_inst_pref_size 14
		.amdhsa_round_robin_scheduling 0
		.amdhsa_exception_fp_ieee_invalid_op 0
		.amdhsa_exception_fp_denorm_src 0
		.amdhsa_exception_fp_ieee_div_zero 0
		.amdhsa_exception_fp_ieee_overflow 0
		.amdhsa_exception_fp_ieee_underflow 0
		.amdhsa_exception_fp_ieee_inexact 0
		.amdhsa_exception_int_div_zero 0
	.end_amdhsa_kernel
	.section	.text._ZL27rocblas_axpy_kernel_batchedIiLi128ELi8EffPKPK16rocblas_bfloat16PKPS0_EviT3_lT4_lT_lT5_lSA_li,"axG",@progbits,_ZL27rocblas_axpy_kernel_batchedIiLi128ELi8EffPKPK16rocblas_bfloat16PKPS0_EviT3_lT4_lT_lT5_lSA_li,comdat
.Lfunc_end177:
	.size	_ZL27rocblas_axpy_kernel_batchedIiLi128ELi8EffPKPK16rocblas_bfloat16PKPS0_EviT3_lT4_lT_lT5_lSA_li, .Lfunc_end177-_ZL27rocblas_axpy_kernel_batchedIiLi128ELi8EffPKPK16rocblas_bfloat16PKPS0_EviT3_lT4_lT_lT5_lSA_li
                                        ; -- End function
	.set _ZL27rocblas_axpy_kernel_batchedIiLi128ELi8EffPKPK16rocblas_bfloat16PKPS0_EviT3_lT4_lT_lT5_lSA_li.num_vgpr, 11
	.set _ZL27rocblas_axpy_kernel_batchedIiLi128ELi8EffPKPK16rocblas_bfloat16PKPS0_EviT3_lT4_lT_lT5_lSA_li.num_agpr, 0
	.set _ZL27rocblas_axpy_kernel_batchedIiLi128ELi8EffPKPK16rocblas_bfloat16PKPS0_EviT3_lT4_lT_lT5_lSA_li.numbered_sgpr, 15
	.set _ZL27rocblas_axpy_kernel_batchedIiLi128ELi8EffPKPK16rocblas_bfloat16PKPS0_EviT3_lT4_lT_lT5_lSA_li.num_named_barrier, 0
	.set _ZL27rocblas_axpy_kernel_batchedIiLi128ELi8EffPKPK16rocblas_bfloat16PKPS0_EviT3_lT4_lT_lT5_lSA_li.private_seg_size, 0
	.set _ZL27rocblas_axpy_kernel_batchedIiLi128ELi8EffPKPK16rocblas_bfloat16PKPS0_EviT3_lT4_lT_lT5_lSA_li.uses_vcc, 1
	.set _ZL27rocblas_axpy_kernel_batchedIiLi128ELi8EffPKPK16rocblas_bfloat16PKPS0_EviT3_lT4_lT_lT5_lSA_li.uses_flat_scratch, 0
	.set _ZL27rocblas_axpy_kernel_batchedIiLi128ELi8EffPKPK16rocblas_bfloat16PKPS0_EviT3_lT4_lT_lT5_lSA_li.has_dyn_sized_stack, 0
	.set _ZL27rocblas_axpy_kernel_batchedIiLi128ELi8EffPKPK16rocblas_bfloat16PKPS0_EviT3_lT4_lT_lT5_lSA_li.has_recursion, 0
	.set _ZL27rocblas_axpy_kernel_batchedIiLi128ELi8EffPKPK16rocblas_bfloat16PKPS0_EviT3_lT4_lT_lT5_lSA_li.has_indirect_call, 0
	.section	.AMDGPU.csdata,"",@progbits
; Kernel info:
; codeLenInByte = 1784
; TotalNumSgprs: 17
; NumVgprs: 11
; ScratchSize: 0
; MemoryBound: 0
; FloatMode: 240
; IeeeMode: 1
; LDSByteSize: 0 bytes/workgroup (compile time only)
; SGPRBlocks: 0
; VGPRBlocks: 0
; NumSGPRsForWavesPerEU: 17
; NumVGPRsForWavesPerEU: 11
; NamedBarCnt: 0
; Occupancy: 16
; WaveLimiterHint : 1
; COMPUTE_PGM_RSRC2:SCRATCH_EN: 0
; COMPUTE_PGM_RSRC2:USER_SGPR: 2
; COMPUTE_PGM_RSRC2:TRAP_HANDLER: 0
; COMPUTE_PGM_RSRC2:TGID_X_EN: 1
; COMPUTE_PGM_RSRC2:TGID_Y_EN: 0
; COMPUTE_PGM_RSRC2:TGID_Z_EN: 1
; COMPUTE_PGM_RSRC2:TIDIG_COMP_CNT: 1
	.section	.text._ZL19rocblas_axpy_kernelIiLi256EfPKfPKPK16rocblas_bfloat16PKPS2_EviT2_lT3_lT_lT4_lSC_li,"axG",@progbits,_ZL19rocblas_axpy_kernelIiLi256EfPKfPKPK16rocblas_bfloat16PKPS2_EviT2_lT3_lT_lT4_lSC_li,comdat
	.globl	_ZL19rocblas_axpy_kernelIiLi256EfPKfPKPK16rocblas_bfloat16PKPS2_EviT2_lT3_lT_lT4_lSC_li ; -- Begin function _ZL19rocblas_axpy_kernelIiLi256EfPKfPKPK16rocblas_bfloat16PKPS2_EviT2_lT3_lT_lT4_lSC_li
	.p2align	8
	.type	_ZL19rocblas_axpy_kernelIiLi256EfPKfPKPK16rocblas_bfloat16PKPS2_EviT2_lT3_lT_lT4_lSC_li,@function
_ZL19rocblas_axpy_kernelIiLi256EfPKfPKPK16rocblas_bfloat16PKPS2_EviT2_lT3_lT_lT4_lSC_li: ; @_ZL19rocblas_axpy_kernelIiLi256EfPKfPKPK16rocblas_bfloat16PKPS2_EviT2_lT3_lT_lT4_lSC_li
; %bb.0:
	s_load_b32 s16, s[0:1], 0x58
	s_bfe_u32 s2, ttmp6, 0x40014
	s_lshr_b32 s3, ttmp7, 16
	s_add_co_i32 s2, s2, 1
	s_bfe_u32 s5, ttmp6, 0x40008
	s_mul_i32 s2, s3, s2
	s_getreg_b32 s4, hwreg(HW_REG_IB_STS2, 6, 4)
	s_add_co_i32 s5, s5, s2
	s_cmp_eq_u32 s4, 0
	s_cselect_b32 s2, s3, s5
	s_mov_b32 s3, 0
	s_wait_kmcnt 0x0
	s_cmp_ge_u32 s2, s16
	s_cbranch_scc1 .LBB178_13
; %bb.1:
	s_clause 0x2
	s_load_b32 s18, s[0:1], 0x0
	s_load_b32 s6, s[0:1], 0x48
	;; [unrolled: 1-line block ×3, first 2 shown]
	s_bfe_u32 s5, ttmp6, 0x4000c
	s_and_b32 s7, ttmp6, 15
	s_add_co_i32 s5, s5, 1
	v_mov_b32_e32 v5, 0
	s_mul_i32 s5, ttmp9, s5
	s_delay_alu instid0(SALU_CYCLE_1)
	s_add_co_i32 s5, s7, s5
	s_wait_kmcnt 0x0
	s_ashr_i32 s19, s18, 31
	s_ashr_i32 s7, s6, 31
	;; [unrolled: 1-line block ×3, first 2 shown]
	s_cmp_eq_u32 s4, 0
	s_cselect_b32 s4, ttmp9, s5
	s_delay_alu instid0(SALU_CYCLE_1) | instskip(NEXT) | instid1(VALU_DEP_1)
	v_lshl_or_b32 v4, s4, 8, v0
	v_mul_u64_e32 v[0:1], s[8:9], v[4:5]
	v_mul_u64_e32 v[2:3], s[6:7], v[4:5]
	s_clause 0x1
	s_load_b256 s[4:11], s[0:1], 0x8
	s_load_b128 s[12:15], s[0:1], 0x38
	v_cmp_gt_i64_e32 vcc_lo, s[18:19], v[4:5]
	s_wait_kmcnt 0x0
	s_lshl_b64 s[10:11], s[10:11], 1
	s_lshl_b64 s[14:15], s[14:15], 1
	s_branch .LBB178_4
.LBB178_2:                              ;   in Loop: Header=BB178_4 Depth=1
	s_or_b32 exec_lo, exec_lo, s17
	flat_store_d16_hi_b16 v[4:5], v7
.LBB178_3:                              ;   in Loop: Header=BB178_4 Depth=1
	s_wait_xcnt 0x0
	s_or_b32 exec_lo, exec_lo, s1
	s_add_co_i32 s2, s2, 0x10000
	s_delay_alu instid0(SALU_CYCLE_1)
	s_cmp_lt_u32 s2, s16
	s_cbranch_scc0 .LBB178_13
.LBB178_4:                              ; =>This Inner Loop Header: Depth=1
	s_mul_u64 s[0:1], s[6:7], s[2:3]
	s_delay_alu instid0(SALU_CYCLE_1) | instskip(NEXT) | instid1(SALU_CYCLE_1)
	s_lshl_b64 s[0:1], s[0:1], 2
	s_add_nc_u64 s[0:1], s[4:5], s[0:1]
	s_load_b32 s0, s[0:1], 0x0
	s_wait_kmcnt 0x0
	s_cmp_neq_f32 s0, 0
	s_wait_xcnt 0x0
	s_cselect_b32 s1, -1, 0
	s_delay_alu instid0(SALU_CYCLE_1) | instskip(NEXT) | instid1(SALU_CYCLE_1)
	s_and_b32 s17, vcc_lo, s1
	s_and_saveexec_b32 s1, s17
	s_cbranch_execz .LBB178_3
; %bb.5:                                ;   in Loop: Header=BB178_4 Depth=1
	s_lshl_b64 s[18:19], s[2:3], 3
	s_delay_alu instid0(SALU_CYCLE_1)
	s_add_nc_u64 s[20:21], s[8:9], s[18:19]
	s_add_nc_u64 s[18:19], s[12:13], s[18:19]
	s_load_b64 s[20:21], s[20:21], 0x0
	s_wait_kmcnt 0x0
	s_wait_xcnt 0x0
	s_add_nc_u64 s[20:21], s[20:21], s[10:11]
	s_load_b64 s[18:19], s[18:19], 0x0
	s_delay_alu instid0(VALU_DEP_3)
	v_lshl_add_u64 v[4:5], v[0:1], 1, s[20:21]
	flat_load_u16 v7, v[4:5]
	s_wait_kmcnt 0x0
	s_add_nc_u64 s[18:19], s[18:19], s[14:15]
	s_wait_xcnt 0x0
	v_lshl_add_u64 v[4:5], v[2:3], 1, s[18:19]
	flat_load_u16 v6, v[4:5]
	s_wait_loadcnt_dscnt 0x101
	v_lshlrev_b32_e32 v7, 16, v7
	s_delay_alu instid0(VALU_DEP_1) | instskip(NEXT) | instid1(VALU_DEP_1)
	v_mul_f32_e32 v7, s0, v7
	v_and_b32_e32 v8, 0x7f800000, v7
	s_delay_alu instid0(VALU_DEP_1) | instskip(SKIP_2) | instid1(SALU_CYCLE_1)
	v_cmp_ne_u32_e64 s0, 0x7f800000, v8
                                        ; implicit-def: $vgpr8
	s_wait_xcnt 0x0
	s_and_saveexec_b32 s17, s0
	s_xor_b32 s0, exec_lo, s17
; %bb.6:                                ;   in Loop: Header=BB178_4 Depth=1
	v_bfe_u32 v8, v7, 16, 1
	s_delay_alu instid0(VALU_DEP_1)
	v_add3_u32 v8, v7, v8, 0x7fff
                                        ; implicit-def: $vgpr7
; %bb.7:                                ;   in Loop: Header=BB178_4 Depth=1
	s_and_not1_saveexec_b32 s17, s0
; %bb.8:                                ;   in Loop: Header=BB178_4 Depth=1
	v_and_b32_e32 v8, 0xffff, v7
	v_or_b32_e32 v9, 0x10000, v7
	s_delay_alu instid0(VALU_DEP_2) | instskip(NEXT) | instid1(VALU_DEP_1)
	v_cmp_eq_u32_e64 s0, 0, v8
	v_cndmask_b32_e64 v8, v9, v7, s0
; %bb.9:                                ;   in Loop: Header=BB178_4 Depth=1
	s_or_b32 exec_lo, exec_lo, s17
	s_delay_alu instid0(VALU_DEP_1) | instskip(SKIP_2) | instid1(VALU_DEP_1)
	v_and_b32_e32 v7, 0xffff0000, v8
	s_wait_loadcnt_dscnt 0x0
	v_lshlrev_b32_e32 v6, 16, v6
	v_add_f32_e32 v6, v6, v7
	s_delay_alu instid0(VALU_DEP_1) | instskip(NEXT) | instid1(VALU_DEP_1)
	v_and_b32_e32 v7, 0x7f800000, v6
	v_cmp_ne_u32_e64 s0, 0x7f800000, v7
                                        ; implicit-def: $vgpr7
	s_and_saveexec_b32 s17, s0
	s_delay_alu instid0(SALU_CYCLE_1)
	s_xor_b32 s0, exec_lo, s17
; %bb.10:                               ;   in Loop: Header=BB178_4 Depth=1
	v_bfe_u32 v7, v6, 16, 1
	s_delay_alu instid0(VALU_DEP_1)
	v_add3_u32 v7, v6, v7, 0x7fff
                                        ; implicit-def: $vgpr6
; %bb.11:                               ;   in Loop: Header=BB178_4 Depth=1
	s_and_not1_saveexec_b32 s17, s0
	s_cbranch_execz .LBB178_2
; %bb.12:                               ;   in Loop: Header=BB178_4 Depth=1
	v_and_b32_e32 v7, 0xffff, v6
	v_or_b32_e32 v8, 0x10000, v6
	s_delay_alu instid0(VALU_DEP_2) | instskip(NEXT) | instid1(VALU_DEP_1)
	v_cmp_eq_u32_e64 s0, 0, v7
	v_cndmask_b32_e64 v7, v8, v6, s0
	s_branch .LBB178_2
.LBB178_13:
	s_endpgm
	.section	.rodata,"a",@progbits
	.p2align	6, 0x0
	.amdhsa_kernel _ZL19rocblas_axpy_kernelIiLi256EfPKfPKPK16rocblas_bfloat16PKPS2_EviT2_lT3_lT_lT4_lSC_li
		.amdhsa_group_segment_fixed_size 0
		.amdhsa_private_segment_fixed_size 0
		.amdhsa_kernarg_size 92
		.amdhsa_user_sgpr_count 2
		.amdhsa_user_sgpr_dispatch_ptr 0
		.amdhsa_user_sgpr_queue_ptr 0
		.amdhsa_user_sgpr_kernarg_segment_ptr 1
		.amdhsa_user_sgpr_dispatch_id 0
		.amdhsa_user_sgpr_kernarg_preload_length 0
		.amdhsa_user_sgpr_kernarg_preload_offset 0
		.amdhsa_user_sgpr_private_segment_size 0
		.amdhsa_wavefront_size32 1
		.amdhsa_uses_dynamic_stack 0
		.amdhsa_enable_private_segment 0
		.amdhsa_system_sgpr_workgroup_id_x 1
		.amdhsa_system_sgpr_workgroup_id_y 0
		.amdhsa_system_sgpr_workgroup_id_z 1
		.amdhsa_system_sgpr_workgroup_info 0
		.amdhsa_system_vgpr_workitem_id 0
		.amdhsa_next_free_vgpr 10
		.amdhsa_next_free_sgpr 22
		.amdhsa_named_barrier_count 0
		.amdhsa_reserve_vcc 1
		.amdhsa_float_round_mode_32 0
		.amdhsa_float_round_mode_16_64 0
		.amdhsa_float_denorm_mode_32 3
		.amdhsa_float_denorm_mode_16_64 3
		.amdhsa_fp16_overflow 0
		.amdhsa_memory_ordered 1
		.amdhsa_forward_progress 1
		.amdhsa_inst_pref_size 6
		.amdhsa_round_robin_scheduling 0
		.amdhsa_exception_fp_ieee_invalid_op 0
		.amdhsa_exception_fp_denorm_src 0
		.amdhsa_exception_fp_ieee_div_zero 0
		.amdhsa_exception_fp_ieee_overflow 0
		.amdhsa_exception_fp_ieee_underflow 0
		.amdhsa_exception_fp_ieee_inexact 0
		.amdhsa_exception_int_div_zero 0
	.end_amdhsa_kernel
	.section	.text._ZL19rocblas_axpy_kernelIiLi256EfPKfPKPK16rocblas_bfloat16PKPS2_EviT2_lT3_lT_lT4_lSC_li,"axG",@progbits,_ZL19rocblas_axpy_kernelIiLi256EfPKfPKPK16rocblas_bfloat16PKPS2_EviT2_lT3_lT_lT4_lSC_li,comdat
.Lfunc_end178:
	.size	_ZL19rocblas_axpy_kernelIiLi256EfPKfPKPK16rocblas_bfloat16PKPS2_EviT2_lT3_lT_lT4_lSC_li, .Lfunc_end178-_ZL19rocblas_axpy_kernelIiLi256EfPKfPKPK16rocblas_bfloat16PKPS2_EviT2_lT3_lT_lT4_lSC_li
                                        ; -- End function
	.set _ZL19rocblas_axpy_kernelIiLi256EfPKfPKPK16rocblas_bfloat16PKPS2_EviT2_lT3_lT_lT4_lSC_li.num_vgpr, 10
	.set _ZL19rocblas_axpy_kernelIiLi256EfPKfPKPK16rocblas_bfloat16PKPS2_EviT2_lT3_lT_lT4_lSC_li.num_agpr, 0
	.set _ZL19rocblas_axpy_kernelIiLi256EfPKfPKPK16rocblas_bfloat16PKPS2_EviT2_lT3_lT_lT4_lSC_li.numbered_sgpr, 22
	.set _ZL19rocblas_axpy_kernelIiLi256EfPKfPKPK16rocblas_bfloat16PKPS2_EviT2_lT3_lT_lT4_lSC_li.num_named_barrier, 0
	.set _ZL19rocblas_axpy_kernelIiLi256EfPKfPKPK16rocblas_bfloat16PKPS2_EviT2_lT3_lT_lT4_lSC_li.private_seg_size, 0
	.set _ZL19rocblas_axpy_kernelIiLi256EfPKfPKPK16rocblas_bfloat16PKPS2_EviT2_lT3_lT_lT4_lSC_li.uses_vcc, 1
	.set _ZL19rocblas_axpy_kernelIiLi256EfPKfPKPK16rocblas_bfloat16PKPS2_EviT2_lT3_lT_lT4_lSC_li.uses_flat_scratch, 0
	.set _ZL19rocblas_axpy_kernelIiLi256EfPKfPKPK16rocblas_bfloat16PKPS2_EviT2_lT3_lT_lT4_lSC_li.has_dyn_sized_stack, 0
	.set _ZL19rocblas_axpy_kernelIiLi256EfPKfPKPK16rocblas_bfloat16PKPS2_EviT2_lT3_lT_lT4_lSC_li.has_recursion, 0
	.set _ZL19rocblas_axpy_kernelIiLi256EfPKfPKPK16rocblas_bfloat16PKPS2_EviT2_lT3_lT_lT4_lSC_li.has_indirect_call, 0
	.section	.AMDGPU.csdata,"",@progbits
; Kernel info:
; codeLenInByte = 668
; TotalNumSgprs: 24
; NumVgprs: 10
; ScratchSize: 0
; MemoryBound: 0
; FloatMode: 240
; IeeeMode: 1
; LDSByteSize: 0 bytes/workgroup (compile time only)
; SGPRBlocks: 0
; VGPRBlocks: 0
; NumSGPRsForWavesPerEU: 24
; NumVGPRsForWavesPerEU: 10
; NamedBarCnt: 0
; Occupancy: 16
; WaveLimiterHint : 1
; COMPUTE_PGM_RSRC2:SCRATCH_EN: 0
; COMPUTE_PGM_RSRC2:USER_SGPR: 2
; COMPUTE_PGM_RSRC2:TRAP_HANDLER: 0
; COMPUTE_PGM_RSRC2:TGID_X_EN: 1
; COMPUTE_PGM_RSRC2:TGID_Y_EN: 0
; COMPUTE_PGM_RSRC2:TGID_Z_EN: 1
; COMPUTE_PGM_RSRC2:TIDIG_COMP_CNT: 0
	.section	.text._ZL19rocblas_axpy_kernelIiLi256EffPKPK16rocblas_bfloat16PKPS0_EviT2_lT3_lT_lT4_lSA_li,"axG",@progbits,_ZL19rocblas_axpy_kernelIiLi256EffPKPK16rocblas_bfloat16PKPS0_EviT2_lT3_lT_lT4_lSA_li,comdat
	.globl	_ZL19rocblas_axpy_kernelIiLi256EffPKPK16rocblas_bfloat16PKPS0_EviT2_lT3_lT_lT4_lSA_li ; -- Begin function _ZL19rocblas_axpy_kernelIiLi256EffPKPK16rocblas_bfloat16PKPS0_EviT2_lT3_lT_lT4_lSA_li
	.p2align	8
	.type	_ZL19rocblas_axpy_kernelIiLi256EffPKPK16rocblas_bfloat16PKPS0_EviT2_lT3_lT_lT4_lSA_li,@function
_ZL19rocblas_axpy_kernelIiLi256EffPKPK16rocblas_bfloat16PKPS0_EviT2_lT3_lT_lT4_lSA_li: ; @_ZL19rocblas_axpy_kernelIiLi256EffPKPK16rocblas_bfloat16PKPS0_EviT2_lT3_lT_lT4_lSA_li
; %bb.0:
	s_load_b32 s12, s[0:1], 0x50
	s_bfe_u32 s2, ttmp6, 0x40014
	s_lshr_b32 s3, ttmp7, 16
	s_add_co_i32 s2, s2, 1
	s_bfe_u32 s5, ttmp6, 0x40008
	s_mul_i32 s4, s3, s2
	s_getreg_b32 s2, hwreg(HW_REG_IB_STS2, 6, 4)
	s_add_co_i32 s5, s5, s4
	s_cmp_eq_u32 s2, 0
	s_cselect_b32 s13, s3, s5
	s_wait_kmcnt 0x0
	s_cmp_ge_u32 s13, s12
	s_cbranch_scc1 .LBB179_13
; %bb.1:
	s_clause 0x1
	s_load_b32 s4, s[0:1], 0x40
	s_load_b32 s6, s[0:1], 0x20
	s_bfe_u32 s3, ttmp6, 0x4000c
	s_and_b32 s5, ttmp6, 15
	s_add_co_i32 s3, s3, 1
	v_mov_b32_e32 v5, 0
	s_mul_i32 s3, ttmp9, s3
	s_delay_alu instid0(SALU_CYCLE_1)
	s_add_co_i32 s8, s5, s3
	s_wait_kmcnt 0x0
	s_ashr_i32 s5, s4, 31
	s_ashr_i32 s7, s6, 31
	s_cmp_eq_u32 s2, 0
	s_load_b64 s[2:3], s[0:1], 0x0
	s_cselect_b32 s8, ttmp9, s8
	s_delay_alu instid0(SALU_CYCLE_1) | instskip(NEXT) | instid1(VALU_DEP_1)
	v_lshl_or_b32 v4, s8, 8, v0
	v_mul_u64_e32 v[0:1], s[6:7], v[4:5]
	v_mul_u64_e32 v[2:3], s[4:5], v[4:5]
	s_clause 0x1
	s_load_b128 s[4:7], s[0:1], 0x10
	s_load_b128 s[8:11], s[0:1], 0x30
	s_wait_kmcnt 0x0
	s_cmp_neq_f32 s3, 0
	s_mov_b32 s0, s2
	s_cselect_b32 s14, -1, 0
	s_ashr_i32 s1, s2, 31
	s_delay_alu instid0(SALU_CYCLE_1)
	v_cmp_gt_i64_e32 vcc_lo, s[0:1], v[4:5]
	s_lshl_b64 s[0:1], s[6:7], 1
	s_lshl_b64 s[6:7], s[10:11], 1
	s_and_b32 s2, s14, vcc_lo
	s_branch .LBB179_4
.LBB179_2:                              ;   in Loop: Header=BB179_4 Depth=1
	s_or_b32 exec_lo, exec_lo, s11
	flat_store_d16_hi_b16 v[4:5], v7
.LBB179_3:                              ;   in Loop: Header=BB179_4 Depth=1
	s_wait_xcnt 0x0
	s_or_b32 exec_lo, exec_lo, s10
	s_add_co_i32 s13, s13, 0x10000
	s_delay_alu instid0(SALU_CYCLE_1)
	s_cmp_lt_u32 s13, s12
	s_cbranch_scc0 .LBB179_13
.LBB179_4:                              ; =>This Inner Loop Header: Depth=1
	s_and_saveexec_b32 s10, s2
	s_cbranch_execz .LBB179_3
; %bb.5:                                ;   in Loop: Header=BB179_4 Depth=1
	s_load_b64 s[14:15], s[4:5], s13 offset:0x0 scale_offset
	s_load_b64 s[16:17], s[8:9], s13 offset:0x0 scale_offset
	s_wait_kmcnt 0x0
	s_add_nc_u64 s[14:15], s[14:15], s[0:1]
	s_delay_alu instid0(VALU_DEP_3) | instid1(SALU_CYCLE_1)
	v_lshl_add_u64 v[4:5], v[0:1], 1, s[14:15]
	s_add_nc_u64 s[14:15], s[16:17], s[6:7]
	flat_load_u16 v7, v[4:5]
	s_wait_xcnt 0x0
	v_lshl_add_u64 v[4:5], v[2:3], 1, s[14:15]
	flat_load_u16 v6, v[4:5]
	s_wait_loadcnt_dscnt 0x101
	v_lshlrev_b32_e32 v7, 16, v7
	s_delay_alu instid0(VALU_DEP_1) | instskip(NEXT) | instid1(VALU_DEP_1)
	v_mul_f32_e32 v7, s3, v7
	v_and_b32_e32 v8, 0x7f800000, v7
	s_delay_alu instid0(VALU_DEP_1) | instskip(SKIP_2) | instid1(SALU_CYCLE_1)
	v_cmp_ne_u32_e32 vcc_lo, 0x7f800000, v8
                                        ; implicit-def: $vgpr8
	s_wait_xcnt 0x0
	s_and_saveexec_b32 s11, vcc_lo
	s_xor_b32 s11, exec_lo, s11
; %bb.6:                                ;   in Loop: Header=BB179_4 Depth=1
	v_bfe_u32 v8, v7, 16, 1
	s_delay_alu instid0(VALU_DEP_1)
	v_add3_u32 v8, v7, v8, 0x7fff
                                        ; implicit-def: $vgpr7
; %bb.7:                                ;   in Loop: Header=BB179_4 Depth=1
	s_and_not1_saveexec_b32 s11, s11
; %bb.8:                                ;   in Loop: Header=BB179_4 Depth=1
	v_and_b32_e32 v8, 0xffff, v7
	v_or_b32_e32 v9, 0x10000, v7
	s_delay_alu instid0(VALU_DEP_2) | instskip(NEXT) | instid1(VALU_DEP_2)
	v_cmp_eq_u32_e32 vcc_lo, 0, v8
	v_cndmask_b32_e32 v8, v9, v7, vcc_lo
; %bb.9:                                ;   in Loop: Header=BB179_4 Depth=1
	s_or_b32 exec_lo, exec_lo, s11
	s_delay_alu instid0(VALU_DEP_1) | instskip(SKIP_2) | instid1(VALU_DEP_1)
	v_and_b32_e32 v7, 0xffff0000, v8
	s_wait_loadcnt_dscnt 0x0
	v_lshlrev_b32_e32 v6, 16, v6
	v_add_f32_e32 v6, v6, v7
	s_delay_alu instid0(VALU_DEP_1) | instskip(NEXT) | instid1(VALU_DEP_1)
	v_and_b32_e32 v7, 0x7f800000, v6
	v_cmp_ne_u32_e32 vcc_lo, 0x7f800000, v7
                                        ; implicit-def: $vgpr7
	s_and_saveexec_b32 s11, vcc_lo
	s_delay_alu instid0(SALU_CYCLE_1)
	s_xor_b32 s11, exec_lo, s11
; %bb.10:                               ;   in Loop: Header=BB179_4 Depth=1
	v_bfe_u32 v7, v6, 16, 1
	s_delay_alu instid0(VALU_DEP_1)
	v_add3_u32 v7, v6, v7, 0x7fff
                                        ; implicit-def: $vgpr6
; %bb.11:                               ;   in Loop: Header=BB179_4 Depth=1
	s_and_not1_saveexec_b32 s11, s11
	s_cbranch_execz .LBB179_2
; %bb.12:                               ;   in Loop: Header=BB179_4 Depth=1
	v_and_b32_e32 v7, 0xffff, v6
	v_or_b32_e32 v8, 0x10000, v6
	s_delay_alu instid0(VALU_DEP_2) | instskip(NEXT) | instid1(VALU_DEP_2)
	v_cmp_eq_u32_e32 vcc_lo, 0, v7
	v_cndmask_b32_e32 v7, v8, v6, vcc_lo
	s_branch .LBB179_2
.LBB179_13:
	s_endpgm
	.section	.rodata,"a",@progbits
	.p2align	6, 0x0
	.amdhsa_kernel _ZL19rocblas_axpy_kernelIiLi256EffPKPK16rocblas_bfloat16PKPS0_EviT2_lT3_lT_lT4_lSA_li
		.amdhsa_group_segment_fixed_size 0
		.amdhsa_private_segment_fixed_size 0
		.amdhsa_kernarg_size 84
		.amdhsa_user_sgpr_count 2
		.amdhsa_user_sgpr_dispatch_ptr 0
		.amdhsa_user_sgpr_queue_ptr 0
		.amdhsa_user_sgpr_kernarg_segment_ptr 1
		.amdhsa_user_sgpr_dispatch_id 0
		.amdhsa_user_sgpr_kernarg_preload_length 0
		.amdhsa_user_sgpr_kernarg_preload_offset 0
		.amdhsa_user_sgpr_private_segment_size 0
		.amdhsa_wavefront_size32 1
		.amdhsa_uses_dynamic_stack 0
		.amdhsa_enable_private_segment 0
		.amdhsa_system_sgpr_workgroup_id_x 1
		.amdhsa_system_sgpr_workgroup_id_y 0
		.amdhsa_system_sgpr_workgroup_id_z 1
		.amdhsa_system_sgpr_workgroup_info 0
		.amdhsa_system_vgpr_workitem_id 0
		.amdhsa_next_free_vgpr 10
		.amdhsa_next_free_sgpr 18
		.amdhsa_named_barrier_count 0
		.amdhsa_reserve_vcc 1
		.amdhsa_float_round_mode_32 0
		.amdhsa_float_round_mode_16_64 0
		.amdhsa_float_denorm_mode_32 3
		.amdhsa_float_denorm_mode_16_64 3
		.amdhsa_fp16_overflow 0
		.amdhsa_memory_ordered 1
		.amdhsa_forward_progress 1
		.amdhsa_inst_pref_size 5
		.amdhsa_round_robin_scheduling 0
		.amdhsa_exception_fp_ieee_invalid_op 0
		.amdhsa_exception_fp_denorm_src 0
		.amdhsa_exception_fp_ieee_div_zero 0
		.amdhsa_exception_fp_ieee_overflow 0
		.amdhsa_exception_fp_ieee_underflow 0
		.amdhsa_exception_fp_ieee_inexact 0
		.amdhsa_exception_int_div_zero 0
	.end_amdhsa_kernel
	.section	.text._ZL19rocblas_axpy_kernelIiLi256EffPKPK16rocblas_bfloat16PKPS0_EviT2_lT3_lT_lT4_lSA_li,"axG",@progbits,_ZL19rocblas_axpy_kernelIiLi256EffPKPK16rocblas_bfloat16PKPS0_EviT2_lT3_lT_lT4_lSA_li,comdat
.Lfunc_end179:
	.size	_ZL19rocblas_axpy_kernelIiLi256EffPKPK16rocblas_bfloat16PKPS0_EviT2_lT3_lT_lT4_lSA_li, .Lfunc_end179-_ZL19rocblas_axpy_kernelIiLi256EffPKPK16rocblas_bfloat16PKPS0_EviT2_lT3_lT_lT4_lSA_li
                                        ; -- End function
	.set _ZL19rocblas_axpy_kernelIiLi256EffPKPK16rocblas_bfloat16PKPS0_EviT2_lT3_lT_lT4_lSA_li.num_vgpr, 10
	.set _ZL19rocblas_axpy_kernelIiLi256EffPKPK16rocblas_bfloat16PKPS0_EviT2_lT3_lT_lT4_lSA_li.num_agpr, 0
	.set _ZL19rocblas_axpy_kernelIiLi256EffPKPK16rocblas_bfloat16PKPS0_EviT2_lT3_lT_lT4_lSA_li.numbered_sgpr, 18
	.set _ZL19rocblas_axpy_kernelIiLi256EffPKPK16rocblas_bfloat16PKPS0_EviT2_lT3_lT_lT4_lSA_li.num_named_barrier, 0
	.set _ZL19rocblas_axpy_kernelIiLi256EffPKPK16rocblas_bfloat16PKPS0_EviT2_lT3_lT_lT4_lSA_li.private_seg_size, 0
	.set _ZL19rocblas_axpy_kernelIiLi256EffPKPK16rocblas_bfloat16PKPS0_EviT2_lT3_lT_lT4_lSA_li.uses_vcc, 1
	.set _ZL19rocblas_axpy_kernelIiLi256EffPKPK16rocblas_bfloat16PKPS0_EviT2_lT3_lT_lT4_lSA_li.uses_flat_scratch, 0
	.set _ZL19rocblas_axpy_kernelIiLi256EffPKPK16rocblas_bfloat16PKPS0_EviT2_lT3_lT_lT4_lSA_li.has_dyn_sized_stack, 0
	.set _ZL19rocblas_axpy_kernelIiLi256EffPKPK16rocblas_bfloat16PKPS0_EviT2_lT3_lT_lT4_lSA_li.has_recursion, 0
	.set _ZL19rocblas_axpy_kernelIiLi256EffPKPK16rocblas_bfloat16PKPS0_EviT2_lT3_lT_lT4_lSA_li.has_indirect_call, 0
	.section	.AMDGPU.csdata,"",@progbits
; Kernel info:
; codeLenInByte = 588
; TotalNumSgprs: 20
; NumVgprs: 10
; ScratchSize: 0
; MemoryBound: 0
; FloatMode: 240
; IeeeMode: 1
; LDSByteSize: 0 bytes/workgroup (compile time only)
; SGPRBlocks: 0
; VGPRBlocks: 0
; NumSGPRsForWavesPerEU: 20
; NumVGPRsForWavesPerEU: 10
; NamedBarCnt: 0
; Occupancy: 16
; WaveLimiterHint : 1
; COMPUTE_PGM_RSRC2:SCRATCH_EN: 0
; COMPUTE_PGM_RSRC2:USER_SGPR: 2
; COMPUTE_PGM_RSRC2:TRAP_HANDLER: 0
; COMPUTE_PGM_RSRC2:TGID_X_EN: 1
; COMPUTE_PGM_RSRC2:TGID_Y_EN: 0
; COMPUTE_PGM_RSRC2:TGID_Z_EN: 1
; COMPUTE_PGM_RSRC2:TIDIG_COMP_CNT: 0
	.section	.text._ZL19rocblas_axpy_kernelIlLi256EfPKfPKPK16rocblas_bfloat16PKPS2_EviT2_lT3_lT_lT4_lSC_li,"axG",@progbits,_ZL19rocblas_axpy_kernelIlLi256EfPKfPKPK16rocblas_bfloat16PKPS2_EviT2_lT3_lT_lT4_lSC_li,comdat
	.globl	_ZL19rocblas_axpy_kernelIlLi256EfPKfPKPK16rocblas_bfloat16PKPS2_EviT2_lT3_lT_lT4_lSC_li ; -- Begin function _ZL19rocblas_axpy_kernelIlLi256EfPKfPKPK16rocblas_bfloat16PKPS2_EviT2_lT3_lT_lT4_lSC_li
	.p2align	8
	.type	_ZL19rocblas_axpy_kernelIlLi256EfPKfPKPK16rocblas_bfloat16PKPS2_EviT2_lT3_lT_lT4_lSC_li,@function
_ZL19rocblas_axpy_kernelIlLi256EfPKfPKPK16rocblas_bfloat16PKPS2_EviT2_lT3_lT_lT4_lSC_li: ; @_ZL19rocblas_axpy_kernelIlLi256EfPKfPKPK16rocblas_bfloat16PKPS2_EviT2_lT3_lT_lT4_lSC_li
; %bb.0:
	s_load_b32 s16, s[0:1], 0x58
	s_bfe_u32 s2, ttmp6, 0x40014
	s_lshr_b32 s3, ttmp7, 16
	s_add_co_i32 s2, s2, 1
	s_bfe_u32 s4, ttmp6, 0x40008
	s_mul_i32 s2, s3, s2
	s_getreg_b32 s8, hwreg(HW_REG_IB_STS2, 6, 4)
	s_add_co_i32 s4, s4, s2
	s_cmp_eq_u32 s8, 0
	s_cselect_b32 s2, s3, s4
	s_mov_b32 s3, 0
	s_wait_kmcnt 0x0
	s_cmp_ge_u32 s2, s16
	s_cbranch_scc1 .LBB180_13
; %bb.1:
	s_clause 0x2
	s_load_b32 s18, s[0:1], 0x0
	s_load_b128 s[12:15], s[0:1], 0x20
	s_load_b128 s[20:23], s[0:1], 0x40
	s_bfe_u32 s4, ttmp6, 0x4000c
	s_and_b32 s9, ttmp6, 15
	s_add_co_i32 s4, s4, 1
	v_mov_b32_e32 v5, 0
	s_mul_i32 s10, ttmp9, s4
	s_load_b128 s[4:7], s[0:1], 0x8
	s_add_co_i32 s9, s9, s10
	s_wait_kmcnt 0x0
	s_ashr_i32 s19, s18, 31
	s_cmp_eq_u32 s8, 0
	s_cselect_b32 s8, ttmp9, s9
	s_lshl_b64 s[12:13], s[12:13], 1
	v_lshl_or_b32 v4, s8, 8, v0
	s_clause 0x1
	s_load_b64 s[8:9], s[0:1], 0x18
	s_load_b64 s[10:11], s[0:1], 0x38
	s_delay_alu instid0(VALU_DEP_1)
	v_mul_u64_e32 v[0:1], s[14:15], v[4:5]
	v_mul_u64_e32 v[2:3], s[22:23], v[4:5]
	s_lshl_b64 s[14:15], s[20:21], 1
	v_cmp_gt_i64_e32 vcc_lo, s[18:19], v[4:5]
	s_branch .LBB180_4
.LBB180_2:                              ;   in Loop: Header=BB180_4 Depth=1
	s_or_b32 exec_lo, exec_lo, s17
	flat_store_d16_hi_b16 v[4:5], v7
.LBB180_3:                              ;   in Loop: Header=BB180_4 Depth=1
	s_wait_xcnt 0x0
	s_or_b32 exec_lo, exec_lo, s1
	s_add_co_i32 s2, s2, 0x10000
	s_delay_alu instid0(SALU_CYCLE_1)
	s_cmp_lt_u32 s2, s16
	s_cbranch_scc0 .LBB180_13
.LBB180_4:                              ; =>This Inner Loop Header: Depth=1
	s_wait_xcnt 0x0
	s_mul_u64 s[0:1], s[6:7], s[2:3]
	s_delay_alu instid0(SALU_CYCLE_1) | instskip(NEXT) | instid1(SALU_CYCLE_1)
	s_lshl_b64 s[0:1], s[0:1], 2
	s_add_nc_u64 s[0:1], s[4:5], s[0:1]
	s_load_b32 s0, s[0:1], 0x0
	s_wait_kmcnt 0x0
	s_cmp_neq_f32 s0, 0
	s_wait_xcnt 0x0
	s_cselect_b32 s1, -1, 0
	s_delay_alu instid0(SALU_CYCLE_1) | instskip(NEXT) | instid1(SALU_CYCLE_1)
	s_and_b32 s17, vcc_lo, s1
	s_and_saveexec_b32 s1, s17
	s_cbranch_execz .LBB180_3
; %bb.5:                                ;   in Loop: Header=BB180_4 Depth=1
	s_lshl_b64 s[18:19], s[2:3], 3
	s_delay_alu instid0(SALU_CYCLE_1)
	s_add_nc_u64 s[20:21], s[8:9], s[18:19]
	s_add_nc_u64 s[18:19], s[10:11], s[18:19]
	s_load_b64 s[20:21], s[20:21], 0x0
	s_wait_kmcnt 0x0
	s_wait_xcnt 0x0
	s_add_nc_u64 s[20:21], s[20:21], s[12:13]
	s_load_b64 s[18:19], s[18:19], 0x0
	s_delay_alu instid0(VALU_DEP_3)
	v_lshl_add_u64 v[4:5], v[0:1], 1, s[20:21]
	flat_load_u16 v7, v[4:5]
	s_wait_kmcnt 0x0
	s_add_nc_u64 s[18:19], s[18:19], s[14:15]
	s_wait_xcnt 0x0
	v_lshl_add_u64 v[4:5], v[2:3], 1, s[18:19]
	flat_load_u16 v6, v[4:5]
	s_wait_loadcnt_dscnt 0x101
	v_lshlrev_b32_e32 v7, 16, v7
	s_delay_alu instid0(VALU_DEP_1) | instskip(NEXT) | instid1(VALU_DEP_1)
	v_mul_f32_e32 v7, s0, v7
	v_and_b32_e32 v8, 0x7f800000, v7
	s_delay_alu instid0(VALU_DEP_1) | instskip(SKIP_2) | instid1(SALU_CYCLE_1)
	v_cmp_ne_u32_e64 s0, 0x7f800000, v8
                                        ; implicit-def: $vgpr8
	s_wait_xcnt 0x0
	s_and_saveexec_b32 s17, s0
	s_xor_b32 s0, exec_lo, s17
; %bb.6:                                ;   in Loop: Header=BB180_4 Depth=1
	v_bfe_u32 v8, v7, 16, 1
	s_delay_alu instid0(VALU_DEP_1)
	v_add3_u32 v8, v7, v8, 0x7fff
                                        ; implicit-def: $vgpr7
; %bb.7:                                ;   in Loop: Header=BB180_4 Depth=1
	s_and_not1_saveexec_b32 s17, s0
; %bb.8:                                ;   in Loop: Header=BB180_4 Depth=1
	v_and_b32_e32 v8, 0xffff, v7
	v_or_b32_e32 v9, 0x10000, v7
	s_delay_alu instid0(VALU_DEP_2) | instskip(NEXT) | instid1(VALU_DEP_1)
	v_cmp_eq_u32_e64 s0, 0, v8
	v_cndmask_b32_e64 v8, v9, v7, s0
; %bb.9:                                ;   in Loop: Header=BB180_4 Depth=1
	s_or_b32 exec_lo, exec_lo, s17
	s_delay_alu instid0(VALU_DEP_1) | instskip(SKIP_2) | instid1(VALU_DEP_1)
	v_and_b32_e32 v7, 0xffff0000, v8
	s_wait_loadcnt_dscnt 0x0
	v_lshlrev_b32_e32 v6, 16, v6
	v_add_f32_e32 v6, v6, v7
	s_delay_alu instid0(VALU_DEP_1) | instskip(NEXT) | instid1(VALU_DEP_1)
	v_and_b32_e32 v7, 0x7f800000, v6
	v_cmp_ne_u32_e64 s0, 0x7f800000, v7
                                        ; implicit-def: $vgpr7
	s_and_saveexec_b32 s17, s0
	s_delay_alu instid0(SALU_CYCLE_1)
	s_xor_b32 s0, exec_lo, s17
; %bb.10:                               ;   in Loop: Header=BB180_4 Depth=1
	v_bfe_u32 v7, v6, 16, 1
	s_delay_alu instid0(VALU_DEP_1)
	v_add3_u32 v7, v6, v7, 0x7fff
                                        ; implicit-def: $vgpr6
; %bb.11:                               ;   in Loop: Header=BB180_4 Depth=1
	s_and_not1_saveexec_b32 s17, s0
	s_cbranch_execz .LBB180_2
; %bb.12:                               ;   in Loop: Header=BB180_4 Depth=1
	v_and_b32_e32 v7, 0xffff, v6
	v_or_b32_e32 v8, 0x10000, v6
	s_delay_alu instid0(VALU_DEP_2) | instskip(NEXT) | instid1(VALU_DEP_1)
	v_cmp_eq_u32_e64 s0, 0, v7
	v_cndmask_b32_e64 v7, v8, v6, s0
	s_branch .LBB180_2
.LBB180_13:
	s_endpgm
	.section	.rodata,"a",@progbits
	.p2align	6, 0x0
	.amdhsa_kernel _ZL19rocblas_axpy_kernelIlLi256EfPKfPKPK16rocblas_bfloat16PKPS2_EviT2_lT3_lT_lT4_lSC_li
		.amdhsa_group_segment_fixed_size 0
		.amdhsa_private_segment_fixed_size 0
		.amdhsa_kernarg_size 92
		.amdhsa_user_sgpr_count 2
		.amdhsa_user_sgpr_dispatch_ptr 0
		.amdhsa_user_sgpr_queue_ptr 0
		.amdhsa_user_sgpr_kernarg_segment_ptr 1
		.amdhsa_user_sgpr_dispatch_id 0
		.amdhsa_user_sgpr_kernarg_preload_length 0
		.amdhsa_user_sgpr_kernarg_preload_offset 0
		.amdhsa_user_sgpr_private_segment_size 0
		.amdhsa_wavefront_size32 1
		.amdhsa_uses_dynamic_stack 0
		.amdhsa_enable_private_segment 0
		.amdhsa_system_sgpr_workgroup_id_x 1
		.amdhsa_system_sgpr_workgroup_id_y 0
		.amdhsa_system_sgpr_workgroup_id_z 1
		.amdhsa_system_sgpr_workgroup_info 0
		.amdhsa_system_vgpr_workitem_id 0
		.amdhsa_next_free_vgpr 10
		.amdhsa_next_free_sgpr 24
		.amdhsa_named_barrier_count 0
		.amdhsa_reserve_vcc 1
		.amdhsa_float_round_mode_32 0
		.amdhsa_float_round_mode_16_64 0
		.amdhsa_float_denorm_mode_32 3
		.amdhsa_float_denorm_mode_16_64 3
		.amdhsa_fp16_overflow 0
		.amdhsa_memory_ordered 1
		.amdhsa_forward_progress 1
		.amdhsa_inst_pref_size 6
		.amdhsa_round_robin_scheduling 0
		.amdhsa_exception_fp_ieee_invalid_op 0
		.amdhsa_exception_fp_denorm_src 0
		.amdhsa_exception_fp_ieee_div_zero 0
		.amdhsa_exception_fp_ieee_overflow 0
		.amdhsa_exception_fp_ieee_underflow 0
		.amdhsa_exception_fp_ieee_inexact 0
		.amdhsa_exception_int_div_zero 0
	.end_amdhsa_kernel
	.section	.text._ZL19rocblas_axpy_kernelIlLi256EfPKfPKPK16rocblas_bfloat16PKPS2_EviT2_lT3_lT_lT4_lSC_li,"axG",@progbits,_ZL19rocblas_axpy_kernelIlLi256EfPKfPKPK16rocblas_bfloat16PKPS2_EviT2_lT3_lT_lT4_lSC_li,comdat
.Lfunc_end180:
	.size	_ZL19rocblas_axpy_kernelIlLi256EfPKfPKPK16rocblas_bfloat16PKPS2_EviT2_lT3_lT_lT4_lSC_li, .Lfunc_end180-_ZL19rocblas_axpy_kernelIlLi256EfPKfPKPK16rocblas_bfloat16PKPS2_EviT2_lT3_lT_lT4_lSC_li
                                        ; -- End function
	.set _ZL19rocblas_axpy_kernelIlLi256EfPKfPKPK16rocblas_bfloat16PKPS2_EviT2_lT3_lT_lT4_lSC_li.num_vgpr, 10
	.set _ZL19rocblas_axpy_kernelIlLi256EfPKfPKPK16rocblas_bfloat16PKPS2_EviT2_lT3_lT_lT4_lSC_li.num_agpr, 0
	.set _ZL19rocblas_axpy_kernelIlLi256EfPKfPKPK16rocblas_bfloat16PKPS2_EviT2_lT3_lT_lT4_lSC_li.numbered_sgpr, 24
	.set _ZL19rocblas_axpy_kernelIlLi256EfPKfPKPK16rocblas_bfloat16PKPS2_EviT2_lT3_lT_lT4_lSC_li.num_named_barrier, 0
	.set _ZL19rocblas_axpy_kernelIlLi256EfPKfPKPK16rocblas_bfloat16PKPS2_EviT2_lT3_lT_lT4_lSC_li.private_seg_size, 0
	.set _ZL19rocblas_axpy_kernelIlLi256EfPKfPKPK16rocblas_bfloat16PKPS2_EviT2_lT3_lT_lT4_lSC_li.uses_vcc, 1
	.set _ZL19rocblas_axpy_kernelIlLi256EfPKfPKPK16rocblas_bfloat16PKPS2_EviT2_lT3_lT_lT4_lSC_li.uses_flat_scratch, 0
	.set _ZL19rocblas_axpy_kernelIlLi256EfPKfPKPK16rocblas_bfloat16PKPS2_EviT2_lT3_lT_lT4_lSC_li.has_dyn_sized_stack, 0
	.set _ZL19rocblas_axpy_kernelIlLi256EfPKfPKPK16rocblas_bfloat16PKPS2_EviT2_lT3_lT_lT4_lSC_li.has_recursion, 0
	.set _ZL19rocblas_axpy_kernelIlLi256EfPKfPKPK16rocblas_bfloat16PKPS2_EviT2_lT3_lT_lT4_lSC_li.has_indirect_call, 0
	.section	.AMDGPU.csdata,"",@progbits
; Kernel info:
; codeLenInByte = 664
; TotalNumSgprs: 26
; NumVgprs: 10
; ScratchSize: 0
; MemoryBound: 0
; FloatMode: 240
; IeeeMode: 1
; LDSByteSize: 0 bytes/workgroup (compile time only)
; SGPRBlocks: 0
; VGPRBlocks: 0
; NumSGPRsForWavesPerEU: 26
; NumVGPRsForWavesPerEU: 10
; NamedBarCnt: 0
; Occupancy: 16
; WaveLimiterHint : 1
; COMPUTE_PGM_RSRC2:SCRATCH_EN: 0
; COMPUTE_PGM_RSRC2:USER_SGPR: 2
; COMPUTE_PGM_RSRC2:TRAP_HANDLER: 0
; COMPUTE_PGM_RSRC2:TGID_X_EN: 1
; COMPUTE_PGM_RSRC2:TGID_Y_EN: 0
; COMPUTE_PGM_RSRC2:TGID_Z_EN: 1
; COMPUTE_PGM_RSRC2:TIDIG_COMP_CNT: 0
	.section	.text._ZL19rocblas_axpy_kernelIlLi256EffPKPK16rocblas_bfloat16PKPS0_EviT2_lT3_lT_lT4_lSA_li,"axG",@progbits,_ZL19rocblas_axpy_kernelIlLi256EffPKPK16rocblas_bfloat16PKPS0_EviT2_lT3_lT_lT4_lSA_li,comdat
	.globl	_ZL19rocblas_axpy_kernelIlLi256EffPKPK16rocblas_bfloat16PKPS0_EviT2_lT3_lT_lT4_lSA_li ; -- Begin function _ZL19rocblas_axpy_kernelIlLi256EffPKPK16rocblas_bfloat16PKPS0_EviT2_lT3_lT_lT4_lSA_li
	.p2align	8
	.type	_ZL19rocblas_axpy_kernelIlLi256EffPKPK16rocblas_bfloat16PKPS0_EviT2_lT3_lT_lT4_lSA_li,@function
_ZL19rocblas_axpy_kernelIlLi256EffPKPK16rocblas_bfloat16PKPS0_EviT2_lT3_lT_lT4_lSA_li: ; @_ZL19rocblas_axpy_kernelIlLi256EffPKPK16rocblas_bfloat16PKPS0_EviT2_lT3_lT_lT4_lSA_li
; %bb.0:
	s_load_b32 s10, s[0:1], 0x50
	s_bfe_u32 s2, ttmp6, 0x40014
	s_lshr_b32 s3, ttmp7, 16
	s_add_co_i32 s2, s2, 1
	s_bfe_u32 s5, ttmp6, 0x40008
	s_mul_i32 s4, s3, s2
	s_getreg_b32 s2, hwreg(HW_REG_IB_STS2, 6, 4)
	s_add_co_i32 s5, s5, s4
	s_cmp_eq_u32 s2, 0
	s_cselect_b32 s11, s3, s5
	s_wait_kmcnt 0x0
	s_cmp_ge_u32 s11, s10
	s_cbranch_scc1 .LBB181_13
; %bb.1:
	s_clause 0x1
	s_load_b128 s[12:15], s[0:1], 0x18
	s_load_b128 s[16:19], s[0:1], 0x38
	s_bfe_u32 s3, ttmp6, 0x4000c
	s_and_b32 s4, ttmp6, 15
	s_add_co_i32 s3, s3, 1
	v_mov_b32_e32 v5, 0
	s_mul_i32 s3, ttmp9, s3
	s_delay_alu instid0(SALU_CYCLE_1) | instskip(SKIP_3) | instid1(SALU_CYCLE_1)
	s_add_co_i32 s4, s4, s3
	s_cmp_eq_u32 s2, 0
	s_load_b64 s[2:3], s[0:1], 0x0
	s_cselect_b32 s4, ttmp9, s4
	v_lshl_or_b32 v4, s4, 8, v0
	s_clause 0x1
	s_load_b64 s[4:5], s[0:1], 0x10
	s_load_b64 s[6:7], s[0:1], 0x30
	s_wait_kmcnt 0x0
	v_mul_u64_e32 v[0:1], s[14:15], v[4:5]
	v_mul_u64_e32 v[2:3], s[18:19], v[4:5]
	s_cmp_neq_f32 s3, 0
	s_mov_b32 s0, s2
	s_cselect_b32 s8, -1, 0
	s_ashr_i32 s1, s2, 31
	s_delay_alu instid0(SALU_CYCLE_1)
	v_cmp_gt_i64_e32 vcc_lo, s[0:1], v[4:5]
	s_lshl_b64 s[0:1], s[12:13], 1
	s_and_b32 s2, s8, vcc_lo
	s_lshl_b64 s[8:9], s[16:17], 1
	s_branch .LBB181_4
.LBB181_2:                              ;   in Loop: Header=BB181_4 Depth=1
	s_or_b32 exec_lo, exec_lo, s13
	flat_store_d16_hi_b16 v[4:5], v7
.LBB181_3:                              ;   in Loop: Header=BB181_4 Depth=1
	s_wait_xcnt 0x0
	s_or_b32 exec_lo, exec_lo, s12
	s_add_co_i32 s11, s11, 0x10000
	s_delay_alu instid0(SALU_CYCLE_1)
	s_cmp_lt_u32 s11, s10
	s_cbranch_scc0 .LBB181_13
.LBB181_4:                              ; =>This Inner Loop Header: Depth=1
	s_and_saveexec_b32 s12, s2
	s_cbranch_execz .LBB181_3
; %bb.5:                                ;   in Loop: Header=BB181_4 Depth=1
	s_load_b64 s[14:15], s[4:5], s11 offset:0x0 scale_offset
	s_load_b64 s[16:17], s[6:7], s11 offset:0x0 scale_offset
	s_wait_kmcnt 0x0
	s_add_nc_u64 s[14:15], s[14:15], s[0:1]
	s_delay_alu instid0(VALU_DEP_3) | instid1(SALU_CYCLE_1)
	v_lshl_add_u64 v[4:5], v[0:1], 1, s[14:15]
	s_add_nc_u64 s[14:15], s[16:17], s[8:9]
	flat_load_u16 v7, v[4:5]
	s_wait_xcnt 0x0
	v_lshl_add_u64 v[4:5], v[2:3], 1, s[14:15]
	flat_load_u16 v6, v[4:5]
	s_wait_loadcnt_dscnt 0x101
	v_lshlrev_b32_e32 v7, 16, v7
	s_delay_alu instid0(VALU_DEP_1) | instskip(NEXT) | instid1(VALU_DEP_1)
	v_mul_f32_e32 v7, s3, v7
	v_and_b32_e32 v8, 0x7f800000, v7
	s_delay_alu instid0(VALU_DEP_1) | instskip(SKIP_2) | instid1(SALU_CYCLE_1)
	v_cmp_ne_u32_e32 vcc_lo, 0x7f800000, v8
                                        ; implicit-def: $vgpr8
	s_wait_xcnt 0x0
	s_and_saveexec_b32 s13, vcc_lo
	s_xor_b32 s13, exec_lo, s13
; %bb.6:                                ;   in Loop: Header=BB181_4 Depth=1
	v_bfe_u32 v8, v7, 16, 1
	s_delay_alu instid0(VALU_DEP_1)
	v_add3_u32 v8, v7, v8, 0x7fff
                                        ; implicit-def: $vgpr7
; %bb.7:                                ;   in Loop: Header=BB181_4 Depth=1
	s_and_not1_saveexec_b32 s13, s13
; %bb.8:                                ;   in Loop: Header=BB181_4 Depth=1
	v_and_b32_e32 v8, 0xffff, v7
	v_or_b32_e32 v9, 0x10000, v7
	s_delay_alu instid0(VALU_DEP_2) | instskip(NEXT) | instid1(VALU_DEP_2)
	v_cmp_eq_u32_e32 vcc_lo, 0, v8
	v_cndmask_b32_e32 v8, v9, v7, vcc_lo
; %bb.9:                                ;   in Loop: Header=BB181_4 Depth=1
	s_or_b32 exec_lo, exec_lo, s13
	s_delay_alu instid0(VALU_DEP_1) | instskip(SKIP_2) | instid1(VALU_DEP_1)
	v_and_b32_e32 v7, 0xffff0000, v8
	s_wait_loadcnt_dscnt 0x0
	v_lshlrev_b32_e32 v6, 16, v6
	v_add_f32_e32 v6, v6, v7
	s_delay_alu instid0(VALU_DEP_1) | instskip(NEXT) | instid1(VALU_DEP_1)
	v_and_b32_e32 v7, 0x7f800000, v6
	v_cmp_ne_u32_e32 vcc_lo, 0x7f800000, v7
                                        ; implicit-def: $vgpr7
	s_and_saveexec_b32 s13, vcc_lo
	s_delay_alu instid0(SALU_CYCLE_1)
	s_xor_b32 s13, exec_lo, s13
; %bb.10:                               ;   in Loop: Header=BB181_4 Depth=1
	v_bfe_u32 v7, v6, 16, 1
	s_delay_alu instid0(VALU_DEP_1)
	v_add3_u32 v7, v6, v7, 0x7fff
                                        ; implicit-def: $vgpr6
; %bb.11:                               ;   in Loop: Header=BB181_4 Depth=1
	s_and_not1_saveexec_b32 s13, s13
	s_cbranch_execz .LBB181_2
; %bb.12:                               ;   in Loop: Header=BB181_4 Depth=1
	v_and_b32_e32 v7, 0xffff, v6
	v_or_b32_e32 v8, 0x10000, v6
	s_delay_alu instid0(VALU_DEP_2) | instskip(NEXT) | instid1(VALU_DEP_2)
	v_cmp_eq_u32_e32 vcc_lo, 0, v7
	v_cndmask_b32_e32 v7, v8, v6, vcc_lo
	s_branch .LBB181_2
.LBB181_13:
	s_endpgm
	.section	.rodata,"a",@progbits
	.p2align	6, 0x0
	.amdhsa_kernel _ZL19rocblas_axpy_kernelIlLi256EffPKPK16rocblas_bfloat16PKPS0_EviT2_lT3_lT_lT4_lSA_li
		.amdhsa_group_segment_fixed_size 0
		.amdhsa_private_segment_fixed_size 0
		.amdhsa_kernarg_size 84
		.amdhsa_user_sgpr_count 2
		.amdhsa_user_sgpr_dispatch_ptr 0
		.amdhsa_user_sgpr_queue_ptr 0
		.amdhsa_user_sgpr_kernarg_segment_ptr 1
		.amdhsa_user_sgpr_dispatch_id 0
		.amdhsa_user_sgpr_kernarg_preload_length 0
		.amdhsa_user_sgpr_kernarg_preload_offset 0
		.amdhsa_user_sgpr_private_segment_size 0
		.amdhsa_wavefront_size32 1
		.amdhsa_uses_dynamic_stack 0
		.amdhsa_enable_private_segment 0
		.amdhsa_system_sgpr_workgroup_id_x 1
		.amdhsa_system_sgpr_workgroup_id_y 0
		.amdhsa_system_sgpr_workgroup_id_z 1
		.amdhsa_system_sgpr_workgroup_info 0
		.amdhsa_system_vgpr_workitem_id 0
		.amdhsa_next_free_vgpr 10
		.amdhsa_next_free_sgpr 20
		.amdhsa_named_barrier_count 0
		.amdhsa_reserve_vcc 1
		.amdhsa_float_round_mode_32 0
		.amdhsa_float_round_mode_16_64 0
		.amdhsa_float_denorm_mode_32 3
		.amdhsa_float_denorm_mode_16_64 3
		.amdhsa_fp16_overflow 0
		.amdhsa_memory_ordered 1
		.amdhsa_forward_progress 1
		.amdhsa_inst_pref_size 5
		.amdhsa_round_robin_scheduling 0
		.amdhsa_exception_fp_ieee_invalid_op 0
		.amdhsa_exception_fp_denorm_src 0
		.amdhsa_exception_fp_ieee_div_zero 0
		.amdhsa_exception_fp_ieee_overflow 0
		.amdhsa_exception_fp_ieee_underflow 0
		.amdhsa_exception_fp_ieee_inexact 0
		.amdhsa_exception_int_div_zero 0
	.end_amdhsa_kernel
	.section	.text._ZL19rocblas_axpy_kernelIlLi256EffPKPK16rocblas_bfloat16PKPS0_EviT2_lT3_lT_lT4_lSA_li,"axG",@progbits,_ZL19rocblas_axpy_kernelIlLi256EffPKPK16rocblas_bfloat16PKPS0_EviT2_lT3_lT_lT4_lSA_li,comdat
.Lfunc_end181:
	.size	_ZL19rocblas_axpy_kernelIlLi256EffPKPK16rocblas_bfloat16PKPS0_EviT2_lT3_lT_lT4_lSA_li, .Lfunc_end181-_ZL19rocblas_axpy_kernelIlLi256EffPKPK16rocblas_bfloat16PKPS0_EviT2_lT3_lT_lT4_lSA_li
                                        ; -- End function
	.set _ZL19rocblas_axpy_kernelIlLi256EffPKPK16rocblas_bfloat16PKPS0_EviT2_lT3_lT_lT4_lSA_li.num_vgpr, 10
	.set _ZL19rocblas_axpy_kernelIlLi256EffPKPK16rocblas_bfloat16PKPS0_EviT2_lT3_lT_lT4_lSA_li.num_agpr, 0
	.set _ZL19rocblas_axpy_kernelIlLi256EffPKPK16rocblas_bfloat16PKPS0_EviT2_lT3_lT_lT4_lSA_li.numbered_sgpr, 20
	.set _ZL19rocblas_axpy_kernelIlLi256EffPKPK16rocblas_bfloat16PKPS0_EviT2_lT3_lT_lT4_lSA_li.num_named_barrier, 0
	.set _ZL19rocblas_axpy_kernelIlLi256EffPKPK16rocblas_bfloat16PKPS0_EviT2_lT3_lT_lT4_lSA_li.private_seg_size, 0
	.set _ZL19rocblas_axpy_kernelIlLi256EffPKPK16rocblas_bfloat16PKPS0_EviT2_lT3_lT_lT4_lSA_li.uses_vcc, 1
	.set _ZL19rocblas_axpy_kernelIlLi256EffPKPK16rocblas_bfloat16PKPS0_EviT2_lT3_lT_lT4_lSA_li.uses_flat_scratch, 0
	.set _ZL19rocblas_axpy_kernelIlLi256EffPKPK16rocblas_bfloat16PKPS0_EviT2_lT3_lT_lT4_lSA_li.has_dyn_sized_stack, 0
	.set _ZL19rocblas_axpy_kernelIlLi256EffPKPK16rocblas_bfloat16PKPS0_EviT2_lT3_lT_lT4_lSA_li.has_recursion, 0
	.set _ZL19rocblas_axpy_kernelIlLi256EffPKPK16rocblas_bfloat16PKPS0_EviT2_lT3_lT_lT4_lSA_li.has_indirect_call, 0
	.section	.AMDGPU.csdata,"",@progbits
; Kernel info:
; codeLenInByte = 572
; TotalNumSgprs: 22
; NumVgprs: 10
; ScratchSize: 0
; MemoryBound: 0
; FloatMode: 240
; IeeeMode: 1
; LDSByteSize: 0 bytes/workgroup (compile time only)
; SGPRBlocks: 0
; VGPRBlocks: 0
; NumSGPRsForWavesPerEU: 22
; NumVGPRsForWavesPerEU: 10
; NamedBarCnt: 0
; Occupancy: 16
; WaveLimiterHint : 1
; COMPUTE_PGM_RSRC2:SCRATCH_EN: 0
; COMPUTE_PGM_RSRC2:USER_SGPR: 2
; COMPUTE_PGM_RSRC2:TRAP_HANDLER: 0
; COMPUTE_PGM_RSRC2:TGID_X_EN: 1
; COMPUTE_PGM_RSRC2:TGID_Y_EN: 0
; COMPUTE_PGM_RSRC2:TGID_Z_EN: 1
; COMPUTE_PGM_RSRC2:TIDIG_COMP_CNT: 0
	.section	.text._ZL22rocblas_saxpy_2_kernelILi256EfPKDF16_PKS1_PKPDF16_EviT1_lT2_llT3_lli,"axG",@progbits,_ZL22rocblas_saxpy_2_kernelILi256EfPKDF16_PKS1_PKPDF16_EviT1_lT2_llT3_lli,comdat
	.globl	_ZL22rocblas_saxpy_2_kernelILi256EfPKDF16_PKS1_PKPDF16_EviT1_lT2_llT3_lli ; -- Begin function _ZL22rocblas_saxpy_2_kernelILi256EfPKDF16_PKS1_PKPDF16_EviT1_lT2_llT3_lli
	.p2align	8
	.type	_ZL22rocblas_saxpy_2_kernelILi256EfPKDF16_PKS1_PKPDF16_EviT1_lT2_llT3_lli,@function
_ZL22rocblas_saxpy_2_kernelILi256EfPKDF16_PKS1_PKPDF16_EviT1_lT2_llT3_lli: ; @_ZL22rocblas_saxpy_2_kernelILi256EfPKDF16_PKS1_PKPDF16_EviT1_lT2_llT3_lli
; %bb.0:
	s_load_b32 s16, s[0:1], 0x48
	s_bfe_u32 s2, ttmp6, 0x40014
	s_lshr_b32 s3, ttmp7, 16
	s_add_co_i32 s2, s2, 1
	s_bfe_u32 s4, ttmp6, 0x40008
	s_mul_i32 s2, s3, s2
	s_getreg_b32 s17, hwreg(HW_REG_IB_STS2, 6, 4)
	s_add_co_i32 s4, s4, s2
	s_cmp_eq_u32 s17, 0
	s_cselect_b32 s2, s3, s4
	s_mov_b32 s3, 0
	s_wait_kmcnt 0x0
	s_cmp_ge_u32 s2, s16
	s_cbranch_scc1 .LBB182_9
; %bb.1:
	s_clause 0x1
	s_load_b32 s18, s[0:1], 0x0
	s_load_b256 s[4:11], s[0:1], 0x8
	s_bfe_u32 s19, ttmp6, 0x4000c
	s_load_b128 s[12:15], s[0:1], 0x30
	s_add_co_i32 s19, s19, 1
	s_wait_xcnt 0x0
	s_and_b32 s0, ttmp6, 15
	s_mul_i32 s1, ttmp9, s19
	v_dual_mov_b32 v1, 0 :: v_dual_lshlrev_b32 v0, 1, v0
	s_add_co_i32 s0, s0, s1
	s_cmp_eq_u32 s17, 0
	s_cselect_b32 s0, ttmp9, s0
	s_delay_alu instid0(VALU_DEP_1) | instid1(SALU_CYCLE_1)
	v_lshl_or_b32 v0, s0, 9, v0
	s_delay_alu instid0(VALU_DEP_1) | instskip(SKIP_2) | instid1(SALU_CYCLE_1)
	v_lshlrev_b64_e32 v[2:3], 1, v[0:1]
	s_wait_kmcnt 0x0
	s_add_co_i32 s0, s18, -1
	s_ashr_i32 s1, s0, 31
	s_bitcmp1_b32 s18, 0
	v_cmp_eq_u64_e32 vcc_lo, s[0:1], v[0:1]
	v_cmp_gt_i64_e64 s0, s[0:1], v[0:1]
	s_cselect_b32 s1, -1, 0
	s_lshl_b64 s[10:11], s[10:11], 1
	s_lshl_b64 s[14:15], s[14:15], 1
	s_and_b32 s1, s1, vcc_lo
	s_branch .LBB182_4
.LBB182_2:                              ;   in Loop: Header=BB182_4 Depth=1
	s_wait_xcnt 0x0
	s_or_b32 exec_lo, exec_lo, s17
.LBB182_3:                              ;   in Loop: Header=BB182_4 Depth=1
	s_add_co_i32 s2, s2, 0x10000
	s_delay_alu instid0(SALU_CYCLE_1)
	s_cmp_lt_u32 s2, s16
	s_cbranch_scc0 .LBB182_9
.LBB182_4:                              ; =>This Inner Loop Header: Depth=1
	s_wait_xcnt 0x0
	s_mul_u64 s[18:19], s[6:7], s[2:3]
	s_delay_alu instid0(SALU_CYCLE_1) | instskip(NEXT) | instid1(SALU_CYCLE_1)
	s_lshl_b64 s[18:19], s[18:19], 1
	s_add_nc_u64 s[18:19], s[4:5], s[18:19]
	global_load_u16 v0, v1, s[18:19]
	s_wait_loadcnt 0x0
	v_cmp_eq_f16_e32 vcc_lo, 0, v0
	s_cbranch_vccnz .LBB182_3
; %bb.5:                                ;   in Loop: Header=BB182_4 Depth=1
	s_wait_xcnt 0x0
	s_lshl_b64 s[18:19], s[2:3], 3
	s_delay_alu instid0(SALU_CYCLE_1)
	s_add_nc_u64 s[20:21], s[12:13], s[18:19]
	s_add_nc_u64 s[18:19], s[8:9], s[18:19]
	s_load_b64 s[22:23], s[20:21], 0x0
	s_load_b64 s[24:25], s[18:19], 0x0
	s_wait_kmcnt 0x0
	s_wait_xcnt 0x0
	s_add_nc_u64 s[18:19], s[22:23], s[14:15]
	s_add_nc_u64 s[20:21], s[24:25], s[10:11]
	v_add_nc_u64_e32 v[4:5], s[18:19], v[2:3]
	v_add_nc_u64_e32 v[6:7], s[20:21], v[2:3]
	s_and_saveexec_b32 s17, s0
	s_cbranch_execz .LBB182_7
; %bb.6:                                ;   in Loop: Header=BB182_4 Depth=1
	flat_load_b32 v8, v[4:5]
	flat_load_u16 v9, v[6:7]
	s_wait_loadcnt_dscnt 0x0
	v_fma_mixlo_f16 v9, v0, v9, v8 op_sel_hi:[1,1,1]
	flat_store_b16 v[4:5], v9
	flat_load_u16 v9, v[6:7] offset:2
	s_wait_loadcnt_dscnt 0x0
	v_fma_mixlo_f16 v8, v0, v9, v8 op_sel:[0,0,1] op_sel_hi:[1,1,1]
	flat_store_b16 v[4:5], v8 offset:2
.LBB182_7:                              ;   in Loop: Header=BB182_4 Depth=1
	s_wait_xcnt 0x0
	s_or_b32 exec_lo, exec_lo, s17
	s_and_saveexec_b32 s17, s1
	s_cbranch_execz .LBB182_2
; %bb.8:                                ;   in Loop: Header=BB182_4 Depth=1
	flat_load_u16 v8, v[4:5]
	flat_load_u16 v9, v[6:7]
	s_wait_loadcnt_dscnt 0x0
	v_fma_mixlo_f16 v0, v0, v9, v8 op_sel_hi:[1,1,1]
	flat_store_b16 v[4:5], v0
	s_branch .LBB182_2
.LBB182_9:
	s_endpgm
	.section	.rodata,"a",@progbits
	.p2align	6, 0x0
	.amdhsa_kernel _ZL22rocblas_saxpy_2_kernelILi256EfPKDF16_PKS1_PKPDF16_EviT1_lT2_llT3_lli
		.amdhsa_group_segment_fixed_size 0
		.amdhsa_private_segment_fixed_size 0
		.amdhsa_kernarg_size 76
		.amdhsa_user_sgpr_count 2
		.amdhsa_user_sgpr_dispatch_ptr 0
		.amdhsa_user_sgpr_queue_ptr 0
		.amdhsa_user_sgpr_kernarg_segment_ptr 1
		.amdhsa_user_sgpr_dispatch_id 0
		.amdhsa_user_sgpr_kernarg_preload_length 0
		.amdhsa_user_sgpr_kernarg_preload_offset 0
		.amdhsa_user_sgpr_private_segment_size 0
		.amdhsa_wavefront_size32 1
		.amdhsa_uses_dynamic_stack 0
		.amdhsa_enable_private_segment 0
		.amdhsa_system_sgpr_workgroup_id_x 1
		.amdhsa_system_sgpr_workgroup_id_y 0
		.amdhsa_system_sgpr_workgroup_id_z 1
		.amdhsa_system_sgpr_workgroup_info 0
		.amdhsa_system_vgpr_workitem_id 0
		.amdhsa_next_free_vgpr 10
		.amdhsa_next_free_sgpr 26
		.amdhsa_named_barrier_count 0
		.amdhsa_reserve_vcc 1
		.amdhsa_float_round_mode_32 0
		.amdhsa_float_round_mode_16_64 0
		.amdhsa_float_denorm_mode_32 3
		.amdhsa_float_denorm_mode_16_64 3
		.amdhsa_fp16_overflow 0
		.amdhsa_memory_ordered 1
		.amdhsa_forward_progress 1
		.amdhsa_inst_pref_size 4
		.amdhsa_round_robin_scheduling 0
		.amdhsa_exception_fp_ieee_invalid_op 0
		.amdhsa_exception_fp_denorm_src 0
		.amdhsa_exception_fp_ieee_div_zero 0
		.amdhsa_exception_fp_ieee_overflow 0
		.amdhsa_exception_fp_ieee_underflow 0
		.amdhsa_exception_fp_ieee_inexact 0
		.amdhsa_exception_int_div_zero 0
	.end_amdhsa_kernel
	.section	.text._ZL22rocblas_saxpy_2_kernelILi256EfPKDF16_PKS1_PKPDF16_EviT1_lT2_llT3_lli,"axG",@progbits,_ZL22rocblas_saxpy_2_kernelILi256EfPKDF16_PKS1_PKPDF16_EviT1_lT2_llT3_lli,comdat
.Lfunc_end182:
	.size	_ZL22rocblas_saxpy_2_kernelILi256EfPKDF16_PKS1_PKPDF16_EviT1_lT2_llT3_lli, .Lfunc_end182-_ZL22rocblas_saxpy_2_kernelILi256EfPKDF16_PKS1_PKPDF16_EviT1_lT2_llT3_lli
                                        ; -- End function
	.set _ZL22rocblas_saxpy_2_kernelILi256EfPKDF16_PKS1_PKPDF16_EviT1_lT2_llT3_lli.num_vgpr, 10
	.set _ZL22rocblas_saxpy_2_kernelILi256EfPKDF16_PKS1_PKPDF16_EviT1_lT2_llT3_lli.num_agpr, 0
	.set _ZL22rocblas_saxpy_2_kernelILi256EfPKDF16_PKS1_PKPDF16_EviT1_lT2_llT3_lli.numbered_sgpr, 26
	.set _ZL22rocblas_saxpy_2_kernelILi256EfPKDF16_PKS1_PKPDF16_EviT1_lT2_llT3_lli.num_named_barrier, 0
	.set _ZL22rocblas_saxpy_2_kernelILi256EfPKDF16_PKS1_PKPDF16_EviT1_lT2_llT3_lli.private_seg_size, 0
	.set _ZL22rocblas_saxpy_2_kernelILi256EfPKDF16_PKS1_PKPDF16_EviT1_lT2_llT3_lli.uses_vcc, 1
	.set _ZL22rocblas_saxpy_2_kernelILi256EfPKDF16_PKS1_PKPDF16_EviT1_lT2_llT3_lli.uses_flat_scratch, 0
	.set _ZL22rocblas_saxpy_2_kernelILi256EfPKDF16_PKS1_PKPDF16_EviT1_lT2_llT3_lli.has_dyn_sized_stack, 0
	.set _ZL22rocblas_saxpy_2_kernelILi256EfPKDF16_PKS1_PKPDF16_EviT1_lT2_llT3_lli.has_recursion, 0
	.set _ZL22rocblas_saxpy_2_kernelILi256EfPKDF16_PKS1_PKPDF16_EviT1_lT2_llT3_lli.has_indirect_call, 0
	.section	.AMDGPU.csdata,"",@progbits
; Kernel info:
; codeLenInByte = 504
; TotalNumSgprs: 28
; NumVgprs: 10
; ScratchSize: 0
; MemoryBound: 0
; FloatMode: 240
; IeeeMode: 1
; LDSByteSize: 0 bytes/workgroup (compile time only)
; SGPRBlocks: 0
; VGPRBlocks: 0
; NumSGPRsForWavesPerEU: 28
; NumVGPRsForWavesPerEU: 10
; NamedBarCnt: 0
; Occupancy: 16
; WaveLimiterHint : 1
; COMPUTE_PGM_RSRC2:SCRATCH_EN: 0
; COMPUTE_PGM_RSRC2:USER_SGPR: 2
; COMPUTE_PGM_RSRC2:TRAP_HANDLER: 0
; COMPUTE_PGM_RSRC2:TGID_X_EN: 1
; COMPUTE_PGM_RSRC2:TGID_Y_EN: 0
; COMPUTE_PGM_RSRC2:TGID_Z_EN: 1
; COMPUTE_PGM_RSRC2:TIDIG_COMP_CNT: 0
	.section	.text._ZL22rocblas_saxpy_2_kernelILi256EfDF16_PKPKDF16_PKPDF16_EviT1_lT2_llT3_lli,"axG",@progbits,_ZL22rocblas_saxpy_2_kernelILi256EfDF16_PKPKDF16_PKPDF16_EviT1_lT2_llT3_lli,comdat
	.globl	_ZL22rocblas_saxpy_2_kernelILi256EfDF16_PKPKDF16_PKPDF16_EviT1_lT2_llT3_lli ; -- Begin function _ZL22rocblas_saxpy_2_kernelILi256EfDF16_PKPKDF16_PKPDF16_EviT1_lT2_llT3_lli
	.p2align	8
	.type	_ZL22rocblas_saxpy_2_kernelILi256EfDF16_PKPKDF16_PKPDF16_EviT1_lT2_llT3_lli,@function
_ZL22rocblas_saxpy_2_kernelILi256EfDF16_PKPKDF16_PKPDF16_EviT1_lT2_llT3_lli: ; @_ZL22rocblas_saxpy_2_kernelILi256EfDF16_PKPKDF16_PKPDF16_EviT1_lT2_llT3_lli
; %bb.0:
	s_load_b32 s12, s[0:1], 0x40
	s_bfe_u32 s2, ttmp6, 0x40014
	s_lshr_b32 s3, ttmp7, 16
	s_add_co_i32 s2, s2, 1
	s_bfe_u32 s5, ttmp6, 0x40008
	s_mul_i32 s4, s3, s2
	s_getreg_b32 s2, hwreg(HW_REG_IB_STS2, 6, 4)
	s_add_co_i32 s5, s5, s4
	s_cmp_eq_u32 s2, 0
	s_cselect_b32 s13, s3, s5
	s_wait_kmcnt 0x0
	s_cmp_ge_u32 s13, s12
	s_cbranch_scc1 .LBB183_9
; %bb.1:
	s_clause 0x1
	s_load_b64 s[16:17], s[0:1], 0x0
	s_load_b128 s[4:7], s[0:1], 0x10
	s_bfe_u32 s3, ttmp6, 0x4000c
	s_and_b32 s14, ttmp6, 15
	s_add_co_i32 s3, s3, 1
	s_load_b128 s[8:11], s[0:1], 0x28
	s_mul_i32 s3, ttmp9, s3
	v_dual_mov_b32 v3, 0 :: v_dual_lshlrev_b32 v0, 1, v0
	s_add_co_i32 s14, s14, s3
	s_cmp_eq_u32 s2, 0
	s_wait_xcnt 0x0
	s_cselect_b32 s0, ttmp9, s14
	s_delay_alu instid0(SALU_CYCLE_1) | instskip(NEXT) | instid1(VALU_DEP_1)
	v_lshl_or_b32 v2, s0, 9, v0
	v_lshlrev_b64_e32 v[0:1], 1, v[2:3]
	s_wait_kmcnt 0x0
	s_cmp_neq_f16 s17, 0
	s_cvt_f32_f16 s14, s17
	s_cselect_b32 s1, -1, 0
	s_add_co_i32 s2, s16, -1
	s_delay_alu instid0(SALU_CYCLE_1)
	s_ashr_i32 s3, s2, 31
	s_bitcmp1_b32 s16, 0
	v_cmp_eq_u64_e32 vcc_lo, s[2:3], v[2:3]
	v_cmp_gt_i64_e64 s0, s[2:3], v[2:3]
	s_cselect_b32 s15, -1, 0
	s_lshl_b64 s[2:3], s[6:7], 1
	s_lshl_b64 s[6:7], s[10:11], 1
	s_and_b32 s15, s15, vcc_lo
	s_branch .LBB183_4
.LBB183_2:                              ;   in Loop: Header=BB183_4 Depth=1
	s_wait_xcnt 0x0
	s_or_b32 exec_lo, exec_lo, s10
.LBB183_3:                              ;   in Loop: Header=BB183_4 Depth=1
	s_add_co_i32 s13, s13, 0x10000
	s_delay_alu instid0(SALU_CYCLE_1)
	s_cmp_lt_u32 s13, s12
	s_cbranch_scc0 .LBB183_9
.LBB183_4:                              ; =>This Inner Loop Header: Depth=1
	s_and_not1_b32 vcc_lo, exec_lo, s1
	s_cbranch_vccnz .LBB183_3
; %bb.5:                                ;   in Loop: Header=BB183_4 Depth=1
	s_load_b64 s[10:11], s[8:9], s13 offset:0x0 scale_offset
	s_load_b64 s[16:17], s[4:5], s13 offset:0x0 scale_offset
	s_wait_kmcnt 0x0
	s_add_nc_u64 s[10:11], s[10:11], s[6:7]
	s_add_nc_u64 s[16:17], s[16:17], s[2:3]
	v_add_nc_u64_e32 v[2:3], s[10:11], v[0:1]
	v_add_nc_u64_e32 v[4:5], s[16:17], v[0:1]
	s_and_saveexec_b32 s10, s0
	s_cbranch_execz .LBB183_7
; %bb.6:                                ;   in Loop: Header=BB183_4 Depth=1
	flat_load_b32 v6, v[2:3]
	flat_load_u16 v7, v[4:5]
	s_wait_loadcnt_dscnt 0x0
	v_fma_mixlo_f16 v7, s14, v7, v6 op_sel_hi:[0,1,1]
	flat_store_b16 v[2:3], v7
	flat_load_u16 v7, v[4:5] offset:2
	s_wait_loadcnt_dscnt 0x0
	v_fma_mixlo_f16 v6, s14, v7, v6 op_sel:[0,0,1] op_sel_hi:[0,1,1]
	flat_store_b16 v[2:3], v6 offset:2
.LBB183_7:                              ;   in Loop: Header=BB183_4 Depth=1
	s_wait_xcnt 0x0
	s_or_b32 exec_lo, exec_lo, s10
	s_and_saveexec_b32 s10, s15
	s_cbranch_execz .LBB183_2
; %bb.8:                                ;   in Loop: Header=BB183_4 Depth=1
	flat_load_u16 v6, v[2:3]
	flat_load_u16 v7, v[4:5]
	s_wait_loadcnt_dscnt 0x0
	v_fma_mixlo_f16 v4, s14, v7, v6 op_sel_hi:[0,1,1]
	flat_store_b16 v[2:3], v4
	s_branch .LBB183_2
.LBB183_9:
	s_endpgm
	.section	.rodata,"a",@progbits
	.p2align	6, 0x0
	.amdhsa_kernel _ZL22rocblas_saxpy_2_kernelILi256EfDF16_PKPKDF16_PKPDF16_EviT1_lT2_llT3_lli
		.amdhsa_group_segment_fixed_size 0
		.amdhsa_private_segment_fixed_size 0
		.amdhsa_kernarg_size 68
		.amdhsa_user_sgpr_count 2
		.amdhsa_user_sgpr_dispatch_ptr 0
		.amdhsa_user_sgpr_queue_ptr 0
		.amdhsa_user_sgpr_kernarg_segment_ptr 1
		.amdhsa_user_sgpr_dispatch_id 0
		.amdhsa_user_sgpr_kernarg_preload_length 0
		.amdhsa_user_sgpr_kernarg_preload_offset 0
		.amdhsa_user_sgpr_private_segment_size 0
		.amdhsa_wavefront_size32 1
		.amdhsa_uses_dynamic_stack 0
		.amdhsa_enable_private_segment 0
		.amdhsa_system_sgpr_workgroup_id_x 1
		.amdhsa_system_sgpr_workgroup_id_y 0
		.amdhsa_system_sgpr_workgroup_id_z 1
		.amdhsa_system_sgpr_workgroup_info 0
		.amdhsa_system_vgpr_workitem_id 0
		.amdhsa_next_free_vgpr 8
		.amdhsa_next_free_sgpr 18
		.amdhsa_named_barrier_count 0
		.amdhsa_reserve_vcc 1
		.amdhsa_float_round_mode_32 0
		.amdhsa_float_round_mode_16_64 0
		.amdhsa_float_denorm_mode_32 3
		.amdhsa_float_denorm_mode_16_64 3
		.amdhsa_fp16_overflow 0
		.amdhsa_memory_ordered 1
		.amdhsa_forward_progress 1
		.amdhsa_inst_pref_size 4
		.amdhsa_round_robin_scheduling 0
		.amdhsa_exception_fp_ieee_invalid_op 0
		.amdhsa_exception_fp_denorm_src 0
		.amdhsa_exception_fp_ieee_div_zero 0
		.amdhsa_exception_fp_ieee_overflow 0
		.amdhsa_exception_fp_ieee_underflow 0
		.amdhsa_exception_fp_ieee_inexact 0
		.amdhsa_exception_int_div_zero 0
	.end_amdhsa_kernel
	.section	.text._ZL22rocblas_saxpy_2_kernelILi256EfDF16_PKPKDF16_PKPDF16_EviT1_lT2_llT3_lli,"axG",@progbits,_ZL22rocblas_saxpy_2_kernelILi256EfDF16_PKPKDF16_PKPDF16_EviT1_lT2_llT3_lli,comdat
.Lfunc_end183:
	.size	_ZL22rocblas_saxpy_2_kernelILi256EfDF16_PKPKDF16_PKPDF16_EviT1_lT2_llT3_lli, .Lfunc_end183-_ZL22rocblas_saxpy_2_kernelILi256EfDF16_PKPKDF16_PKPDF16_EviT1_lT2_llT3_lli
                                        ; -- End function
	.set _ZL22rocblas_saxpy_2_kernelILi256EfDF16_PKPKDF16_PKPDF16_EviT1_lT2_llT3_lli.num_vgpr, 8
	.set _ZL22rocblas_saxpy_2_kernelILi256EfDF16_PKPKDF16_PKPDF16_EviT1_lT2_llT3_lli.num_agpr, 0
	.set _ZL22rocblas_saxpy_2_kernelILi256EfDF16_PKPKDF16_PKPDF16_EviT1_lT2_llT3_lli.numbered_sgpr, 18
	.set _ZL22rocblas_saxpy_2_kernelILi256EfDF16_PKPKDF16_PKPDF16_EviT1_lT2_llT3_lli.num_named_barrier, 0
	.set _ZL22rocblas_saxpy_2_kernelILi256EfDF16_PKPKDF16_PKPDF16_EviT1_lT2_llT3_lli.private_seg_size, 0
	.set _ZL22rocblas_saxpy_2_kernelILi256EfDF16_PKPKDF16_PKPDF16_EviT1_lT2_llT3_lli.uses_vcc, 1
	.set _ZL22rocblas_saxpy_2_kernelILi256EfDF16_PKPKDF16_PKPDF16_EviT1_lT2_llT3_lli.uses_flat_scratch, 0
	.set _ZL22rocblas_saxpy_2_kernelILi256EfDF16_PKPKDF16_PKPDF16_EviT1_lT2_llT3_lli.has_dyn_sized_stack, 0
	.set _ZL22rocblas_saxpy_2_kernelILi256EfDF16_PKPKDF16_PKPDF16_EviT1_lT2_llT3_lli.has_recursion, 0
	.set _ZL22rocblas_saxpy_2_kernelILi256EfDF16_PKPKDF16_PKPDF16_EviT1_lT2_llT3_lli.has_indirect_call, 0
	.section	.AMDGPU.csdata,"",@progbits
; Kernel info:
; codeLenInByte = 452
; TotalNumSgprs: 20
; NumVgprs: 8
; ScratchSize: 0
; MemoryBound: 0
; FloatMode: 240
; IeeeMode: 1
; LDSByteSize: 0 bytes/workgroup (compile time only)
; SGPRBlocks: 0
; VGPRBlocks: 0
; NumSGPRsForWavesPerEU: 20
; NumVGPRsForWavesPerEU: 8
; NamedBarCnt: 0
; Occupancy: 16
; WaveLimiterHint : 1
; COMPUTE_PGM_RSRC2:SCRATCH_EN: 0
; COMPUTE_PGM_RSRC2:USER_SGPR: 2
; COMPUTE_PGM_RSRC2:TRAP_HANDLER: 0
; COMPUTE_PGM_RSRC2:TGID_X_EN: 1
; COMPUTE_PGM_RSRC2:TGID_Y_EN: 0
; COMPUTE_PGM_RSRC2:TGID_Z_EN: 1
; COMPUTE_PGM_RSRC2:TIDIG_COMP_CNT: 0
	.section	.text._ZL27rocblas_axpy_kernel_batchedIiLi128ELi8EfPKDF16_PKS1_PKPDF16_EviT3_lT4_lT_lT5_lS9_li,"axG",@progbits,_ZL27rocblas_axpy_kernel_batchedIiLi128ELi8EfPKDF16_PKS1_PKPDF16_EviT3_lT4_lT_lT5_lS9_li,comdat
	.globl	_ZL27rocblas_axpy_kernel_batchedIiLi128ELi8EfPKDF16_PKS1_PKPDF16_EviT3_lT4_lT_lT5_lS9_li ; -- Begin function _ZL27rocblas_axpy_kernel_batchedIiLi128ELi8EfPKDF16_PKS1_PKPDF16_EviT3_lT4_lT_lT5_lS9_li
	.p2align	8
	.type	_ZL27rocblas_axpy_kernel_batchedIiLi128ELi8EfPKDF16_PKS1_PKPDF16_EviT3_lT4_lT_lT5_lS9_li,@function
_ZL27rocblas_axpy_kernel_batchedIiLi128ELi8EfPKDF16_PKS1_PKPDF16_EviT3_lT4_lT_lT5_lS9_li: ; @_ZL27rocblas_axpy_kernel_batchedIiLi128ELi8EfPKDF16_PKS1_PKPDF16_EviT3_lT4_lT_lT5_lS9_li
; %bb.0:
	s_load_b32 s4, s[0:1], 0x0
	s_bfe_u32 s2, ttmp6, 0x4000c
	s_and_b32 s5, ttmp6, 15
	s_add_co_i32 s2, s2, 1
	s_getreg_b32 s3, hwreg(HW_REG_IB_STS2, 6, 4)
	s_mul_i32 s2, ttmp9, s2
	v_and_b32_e32 v1, 0x3ff, v0
	s_add_co_i32 s2, s5, s2
	v_mov_b32_e32 v5, 0
	s_wait_kmcnt 0x0
	s_ashr_i32 s5, s4, 31
	s_cmp_eq_u32 s3, 0
	s_cselect_b32 s2, ttmp9, s2
	s_delay_alu instid0(SALU_CYCLE_1) | instskip(SKIP_1) | instid1(VALU_DEP_1)
	v_lshl_add_u32 v4, s2, 7, v1
	s_mov_b32 s2, exec_lo
	v_cmpx_gt_i64_e64 s[4:5], v[4:5]
	s_cbranch_execz .LBB184_15
; %bb.1:
	s_load_b32 s2, s[0:1], 0x58
	s_bfe_u32 s4, ttmp6, 0x40014
	v_lshrrev_b32_e32 v0, 8, v0
	s_lshr_b32 s5, ttmp7, 16
	s_add_co_i32 s4, s4, 1
	s_bfe_u32 s6, ttmp6, 0x40008
	s_mul_i32 s4, s5, s4
	v_and_b32_e32 v0, 0xffc, v0
	s_add_co_i32 s6, s6, s4
	s_cmp_eq_u32 s3, 0
	s_cselect_b32 s3, s5, s6
	s_delay_alu instid0(VALU_DEP_1) | instid1(SALU_CYCLE_1)
	v_lshl_add_u32 v0, s3, 5, v0
	s_wait_kmcnt 0x0
	s_delay_alu instid0(VALU_DEP_1)
	v_cmp_gt_u32_e32 vcc_lo, s2, v0
	s_and_b32 exec_lo, exec_lo, vcc_lo
	s_cbranch_execz .LBB184_15
; %bb.2:
	s_clause 0x3
	s_load_b32 s4, s[0:1], 0x28
	s_load_b32 s6, s[0:1], 0x48
	s_load_b128 s[12:15], s[0:1], 0x38
	s_load_b32 s3, s[0:1], 0x68
	v_mov_b32_e32 v1, 0
	s_wait_kmcnt 0x0
	s_ashr_i32 s5, s4, 31
	s_ashr_i32 s7, s6, 31
	v_mul_u64_e32 v[2:3], s[4:5], v[4:5]
	v_mul_u64_e32 v[4:5], s[6:7], v[4:5]
	s_load_b256 s[4:11], s[0:1], 0x8
	s_wait_xcnt 0x0
	s_lshl_b32 s0, s3, 5
	s_mov_b32 s1, 0
	s_branch .LBB184_4
.LBB184_3:                              ;   in Loop: Header=BB184_4 Depth=1
	s_wait_xcnt 0x0
	s_or_b32 exec_lo, exec_lo, s3
	v_add_nc_u32_e32 v0, s0, v0
	s_delay_alu instid0(VALU_DEP_1) | instskip(SKIP_1) | instid1(SALU_CYCLE_1)
	v_cmp_le_u32_e32 vcc_lo, s2, v0
	s_or_b32 s1, vcc_lo, s1
	s_and_not1_b32 exec_lo, exec_lo, s1
	s_cbranch_execz .LBB184_15
.LBB184_4:                              ; =>This Inner Loop Header: Depth=1
	s_wait_kmcnt 0x0
	v_mul_u64_e32 v[6:7], s[6:7], v[0:1]
	s_mov_b32 s3, exec_lo
	s_delay_alu instid0(VALU_DEP_1)
	v_lshl_add_u64 v[6:7], v[6:7], 1, s[4:5]
	global_load_u16 v6, v[6:7], off
	s_wait_loadcnt 0x0
	s_wait_xcnt 0x0
	v_cmpx_neq_f16_e32 0, v6
	s_cbranch_execz .LBB184_6
; %bb.5:                                ;   in Loop: Header=BB184_4 Depth=1
	v_lshlrev_b64_e32 v[8:9], 3, v[0:1]
	s_delay_alu instid0(VALU_DEP_1)
	v_add_nc_u64_e32 v[10:11], s[12:13], v[8:9]
	v_add_nc_u64_e32 v[8:9], s[8:9], v[8:9]
	global_load_b64 v[12:13], v[10:11], off
	global_load_b64 v[14:15], v[8:9], off
	s_wait_loadcnt 0x1
	s_wait_xcnt 0x0
	v_lshl_add_u64 v[8:9], s[14:15], 1, v[12:13]
	s_wait_loadcnt 0x0
	v_lshl_add_u64 v[10:11], s[10:11], 1, v[14:15]
	s_delay_alu instid0(VALU_DEP_2) | instskip(NEXT) | instid1(VALU_DEP_2)
	v_lshl_add_u64 v[8:9], v[4:5], 1, v[8:9]
	v_lshl_add_u64 v[10:11], v[2:3], 1, v[10:11]
	flat_load_u16 v7, v[8:9]
	flat_load_u16 v12, v[10:11]
	s_wait_loadcnt_dscnt 0x0
	v_fma_mixlo_f16 v6, v6, v12, v7 op_sel_hi:[1,1,1]
	flat_store_b16 v[8:9], v6
.LBB184_6:                              ;   in Loop: Header=BB184_4 Depth=1
	s_wait_xcnt 0x0
	s_or_b32 exec_lo, exec_lo, s3
	v_add_nc_u32_e32 v6, 1, v0
	s_mov_b32 s3, exec_lo
	s_delay_alu instid0(VALU_DEP_1)
	v_cmpx_gt_u32_e64 s2, v6
	s_cbranch_execz .LBB184_9
; %bb.7:                                ;   in Loop: Header=BB184_4 Depth=1
	v_mov_b32_e32 v7, v1
	s_delay_alu instid0(VALU_DEP_1) | instskip(NEXT) | instid1(VALU_DEP_1)
	v_mul_u64_e32 v[6:7], s[6:7], v[6:7]
	v_lshl_add_u64 v[6:7], v[6:7], 1, s[4:5]
	global_load_u16 v6, v[6:7], off
	s_wait_loadcnt 0x0
	v_cmp_neq_f16_e32 vcc_lo, 0, v6
	s_wait_xcnt 0x0
	s_and_b32 exec_lo, exec_lo, vcc_lo
	s_cbranch_execz .LBB184_9
; %bb.8:                                ;   in Loop: Header=BB184_4 Depth=1
	v_lshlrev_b64_e32 v[8:9], 3, v[0:1]
	s_delay_alu instid0(VALU_DEP_1)
	v_add_nc_u64_e32 v[10:11], s[12:13], v[8:9]
	v_add_nc_u64_e32 v[8:9], s[8:9], v[8:9]
	global_load_b64 v[12:13], v[10:11], off offset:8
	global_load_b64 v[14:15], v[8:9], off offset:8
	s_wait_loadcnt 0x1
	s_wait_xcnt 0x0
	v_lshl_add_u64 v[8:9], s[14:15], 1, v[12:13]
	s_wait_loadcnt 0x0
	v_lshl_add_u64 v[10:11], s[10:11], 1, v[14:15]
	s_delay_alu instid0(VALU_DEP_2) | instskip(NEXT) | instid1(VALU_DEP_2)
	v_lshl_add_u64 v[8:9], v[4:5], 1, v[8:9]
	v_lshl_add_u64 v[10:11], v[2:3], 1, v[10:11]
	flat_load_u16 v7, v[8:9]
	flat_load_u16 v12, v[10:11]
	s_wait_loadcnt_dscnt 0x0
	v_fma_mixlo_f16 v6, v6, v12, v7 op_sel_hi:[1,1,1]
	flat_store_b16 v[8:9], v6
.LBB184_9:                              ;   in Loop: Header=BB184_4 Depth=1
	s_wait_xcnt 0x0
	s_or_b32 exec_lo, exec_lo, s3
	v_add_nc_u32_e32 v6, 2, v0
	s_mov_b32 s3, exec_lo
	s_delay_alu instid0(VALU_DEP_1)
	v_cmpx_gt_u32_e64 s2, v6
	s_cbranch_execz .LBB184_12
; %bb.10:                               ;   in Loop: Header=BB184_4 Depth=1
	v_mov_b32_e32 v7, v1
	s_delay_alu instid0(VALU_DEP_1) | instskip(NEXT) | instid1(VALU_DEP_1)
	v_mul_u64_e32 v[6:7], s[6:7], v[6:7]
	v_lshl_add_u64 v[6:7], v[6:7], 1, s[4:5]
	global_load_u16 v6, v[6:7], off
	s_wait_loadcnt 0x0
	v_cmp_neq_f16_e32 vcc_lo, 0, v6
	s_wait_xcnt 0x0
	s_and_b32 exec_lo, exec_lo, vcc_lo
	s_cbranch_execz .LBB184_12
; %bb.11:                               ;   in Loop: Header=BB184_4 Depth=1
	v_lshlrev_b64_e32 v[8:9], 3, v[0:1]
	s_delay_alu instid0(VALU_DEP_1)
	v_add_nc_u64_e32 v[10:11], s[12:13], v[8:9]
	v_add_nc_u64_e32 v[8:9], s[8:9], v[8:9]
	global_load_b64 v[12:13], v[10:11], off offset:16
	global_load_b64 v[14:15], v[8:9], off offset:16
	s_wait_loadcnt 0x1
	s_wait_xcnt 0x0
	v_lshl_add_u64 v[8:9], s[14:15], 1, v[12:13]
	s_wait_loadcnt 0x0
	v_lshl_add_u64 v[10:11], s[10:11], 1, v[14:15]
	s_delay_alu instid0(VALU_DEP_2) | instskip(NEXT) | instid1(VALU_DEP_2)
	v_lshl_add_u64 v[8:9], v[4:5], 1, v[8:9]
	v_lshl_add_u64 v[10:11], v[2:3], 1, v[10:11]
	flat_load_u16 v7, v[8:9]
	flat_load_u16 v12, v[10:11]
	s_wait_loadcnt_dscnt 0x0
	v_fma_mixlo_f16 v6, v6, v12, v7 op_sel_hi:[1,1,1]
	flat_store_b16 v[8:9], v6
.LBB184_12:                             ;   in Loop: Header=BB184_4 Depth=1
	s_wait_xcnt 0x0
	s_or_b32 exec_lo, exec_lo, s3
	v_add_nc_u32_e32 v6, 3, v0
	s_mov_b32 s3, exec_lo
	s_delay_alu instid0(VALU_DEP_1)
	v_cmpx_gt_u32_e64 s2, v6
	s_cbranch_execz .LBB184_3
; %bb.13:                               ;   in Loop: Header=BB184_4 Depth=1
	v_mov_b32_e32 v7, v1
	s_delay_alu instid0(VALU_DEP_1) | instskip(NEXT) | instid1(VALU_DEP_1)
	v_mul_u64_e32 v[6:7], s[6:7], v[6:7]
	v_lshl_add_u64 v[6:7], v[6:7], 1, s[4:5]
	global_load_u16 v6, v[6:7], off
	s_wait_loadcnt 0x0
	v_cmp_neq_f16_e32 vcc_lo, 0, v6
	s_wait_xcnt 0x0
	s_and_b32 exec_lo, exec_lo, vcc_lo
	s_cbranch_execz .LBB184_3
; %bb.14:                               ;   in Loop: Header=BB184_4 Depth=1
	v_lshlrev_b64_e32 v[8:9], 3, v[0:1]
	s_delay_alu instid0(VALU_DEP_1)
	v_add_nc_u64_e32 v[10:11], s[12:13], v[8:9]
	v_add_nc_u64_e32 v[8:9], s[8:9], v[8:9]
	global_load_b64 v[12:13], v[10:11], off offset:24
	global_load_b64 v[14:15], v[8:9], off offset:24
	s_wait_loadcnt 0x1
	s_wait_xcnt 0x0
	v_lshl_add_u64 v[8:9], s[14:15], 1, v[12:13]
	s_wait_loadcnt 0x0
	v_lshl_add_u64 v[10:11], s[10:11], 1, v[14:15]
	s_delay_alu instid0(VALU_DEP_2) | instskip(NEXT) | instid1(VALU_DEP_2)
	v_lshl_add_u64 v[8:9], v[4:5], 1, v[8:9]
	v_lshl_add_u64 v[10:11], v[2:3], 1, v[10:11]
	flat_load_u16 v7, v[8:9]
	flat_load_u16 v12, v[10:11]
	s_wait_loadcnt_dscnt 0x0
	v_fma_mixlo_f16 v6, v6, v12, v7 op_sel_hi:[1,1,1]
	flat_store_b16 v[8:9], v6
	s_branch .LBB184_3
.LBB184_15:
	s_endpgm
	.section	.rodata,"a",@progbits
	.p2align	6, 0x0
	.amdhsa_kernel _ZL27rocblas_axpy_kernel_batchedIiLi128ELi8EfPKDF16_PKS1_PKPDF16_EviT3_lT4_lT_lT5_lS9_li
		.amdhsa_group_segment_fixed_size 0
		.amdhsa_private_segment_fixed_size 0
		.amdhsa_kernarg_size 352
		.amdhsa_user_sgpr_count 2
		.amdhsa_user_sgpr_dispatch_ptr 0
		.amdhsa_user_sgpr_queue_ptr 0
		.amdhsa_user_sgpr_kernarg_segment_ptr 1
		.amdhsa_user_sgpr_dispatch_id 0
		.amdhsa_user_sgpr_kernarg_preload_length 0
		.amdhsa_user_sgpr_kernarg_preload_offset 0
		.amdhsa_user_sgpr_private_segment_size 0
		.amdhsa_wavefront_size32 1
		.amdhsa_uses_dynamic_stack 0
		.amdhsa_enable_private_segment 0
		.amdhsa_system_sgpr_workgroup_id_x 1
		.amdhsa_system_sgpr_workgroup_id_y 0
		.amdhsa_system_sgpr_workgroup_id_z 1
		.amdhsa_system_sgpr_workgroup_info 0
		.amdhsa_system_vgpr_workitem_id 1
		.amdhsa_next_free_vgpr 16
		.amdhsa_next_free_sgpr 16
		.amdhsa_named_barrier_count 0
		.amdhsa_reserve_vcc 1
		.amdhsa_float_round_mode_32 0
		.amdhsa_float_round_mode_16_64 0
		.amdhsa_float_denorm_mode_32 3
		.amdhsa_float_denorm_mode_16_64 3
		.amdhsa_fp16_overflow 0
		.amdhsa_memory_ordered 1
		.amdhsa_forward_progress 1
		.amdhsa_inst_pref_size 10
		.amdhsa_round_robin_scheduling 0
		.amdhsa_exception_fp_ieee_invalid_op 0
		.amdhsa_exception_fp_denorm_src 0
		.amdhsa_exception_fp_ieee_div_zero 0
		.amdhsa_exception_fp_ieee_overflow 0
		.amdhsa_exception_fp_ieee_underflow 0
		.amdhsa_exception_fp_ieee_inexact 0
		.amdhsa_exception_int_div_zero 0
	.end_amdhsa_kernel
	.section	.text._ZL27rocblas_axpy_kernel_batchedIiLi128ELi8EfPKDF16_PKS1_PKPDF16_EviT3_lT4_lT_lT5_lS9_li,"axG",@progbits,_ZL27rocblas_axpy_kernel_batchedIiLi128ELi8EfPKDF16_PKS1_PKPDF16_EviT3_lT4_lT_lT5_lS9_li,comdat
.Lfunc_end184:
	.size	_ZL27rocblas_axpy_kernel_batchedIiLi128ELi8EfPKDF16_PKS1_PKPDF16_EviT3_lT4_lT_lT5_lS9_li, .Lfunc_end184-_ZL27rocblas_axpy_kernel_batchedIiLi128ELi8EfPKDF16_PKS1_PKPDF16_EviT3_lT4_lT_lT5_lS9_li
                                        ; -- End function
	.set _ZL27rocblas_axpy_kernel_batchedIiLi128ELi8EfPKDF16_PKS1_PKPDF16_EviT3_lT4_lT_lT5_lS9_li.num_vgpr, 16
	.set _ZL27rocblas_axpy_kernel_batchedIiLi128ELi8EfPKDF16_PKS1_PKPDF16_EviT3_lT4_lT_lT5_lS9_li.num_agpr, 0
	.set _ZL27rocblas_axpy_kernel_batchedIiLi128ELi8EfPKDF16_PKS1_PKPDF16_EviT3_lT4_lT_lT5_lS9_li.numbered_sgpr, 16
	.set _ZL27rocblas_axpy_kernel_batchedIiLi128ELi8EfPKDF16_PKS1_PKPDF16_EviT3_lT4_lT_lT5_lS9_li.num_named_barrier, 0
	.set _ZL27rocblas_axpy_kernel_batchedIiLi128ELi8EfPKDF16_PKS1_PKPDF16_EviT3_lT4_lT_lT5_lS9_li.private_seg_size, 0
	.set _ZL27rocblas_axpy_kernel_batchedIiLi128ELi8EfPKDF16_PKS1_PKPDF16_EviT3_lT4_lT_lT5_lS9_li.uses_vcc, 1
	.set _ZL27rocblas_axpy_kernel_batchedIiLi128ELi8EfPKDF16_PKS1_PKPDF16_EviT3_lT4_lT_lT5_lS9_li.uses_flat_scratch, 0
	.set _ZL27rocblas_axpy_kernel_batchedIiLi128ELi8EfPKDF16_PKS1_PKPDF16_EviT3_lT4_lT_lT5_lS9_li.has_dyn_sized_stack, 0
	.set _ZL27rocblas_axpy_kernel_batchedIiLi128ELi8EfPKDF16_PKS1_PKPDF16_EviT3_lT4_lT_lT5_lS9_li.has_recursion, 0
	.set _ZL27rocblas_axpy_kernel_batchedIiLi128ELi8EfPKDF16_PKS1_PKPDF16_EviT3_lT4_lT_lT5_lS9_li.has_indirect_call, 0
	.section	.AMDGPU.csdata,"",@progbits
; Kernel info:
; codeLenInByte = 1156
; TotalNumSgprs: 18
; NumVgprs: 16
; ScratchSize: 0
; MemoryBound: 0
; FloatMode: 240
; IeeeMode: 1
; LDSByteSize: 0 bytes/workgroup (compile time only)
; SGPRBlocks: 0
; VGPRBlocks: 0
; NumSGPRsForWavesPerEU: 18
; NumVGPRsForWavesPerEU: 16
; NamedBarCnt: 0
; Occupancy: 16
; WaveLimiterHint : 1
; COMPUTE_PGM_RSRC2:SCRATCH_EN: 0
; COMPUTE_PGM_RSRC2:USER_SGPR: 2
; COMPUTE_PGM_RSRC2:TRAP_HANDLER: 0
; COMPUTE_PGM_RSRC2:TGID_X_EN: 1
; COMPUTE_PGM_RSRC2:TGID_Y_EN: 0
; COMPUTE_PGM_RSRC2:TGID_Z_EN: 1
; COMPUTE_PGM_RSRC2:TIDIG_COMP_CNT: 1
	.section	.text._ZL27rocblas_axpy_kernel_batchedIiLi128ELi8EfDF16_PKPKDF16_PKPDF16_EviT3_lT4_lT_lT5_lS9_li,"axG",@progbits,_ZL27rocblas_axpy_kernel_batchedIiLi128ELi8EfDF16_PKPKDF16_PKPDF16_EviT3_lT4_lT_lT5_lS9_li,comdat
	.globl	_ZL27rocblas_axpy_kernel_batchedIiLi128ELi8EfDF16_PKPKDF16_PKPDF16_EviT3_lT4_lT_lT5_lS9_li ; -- Begin function _ZL27rocblas_axpy_kernel_batchedIiLi128ELi8EfDF16_PKPKDF16_PKPDF16_EviT3_lT4_lT_lT5_lS9_li
	.p2align	8
	.type	_ZL27rocblas_axpy_kernel_batchedIiLi128ELi8EfDF16_PKPKDF16_PKPDF16_EviT3_lT4_lT_lT5_lS9_li,@function
_ZL27rocblas_axpy_kernel_batchedIiLi128ELi8EfDF16_PKPKDF16_PKPDF16_EviT3_lT4_lT_lT5_lS9_li: ; @_ZL27rocblas_axpy_kernel_batchedIiLi128ELi8EfDF16_PKPKDF16_PKPDF16_EviT3_lT4_lT_lT5_lS9_li
; %bb.0:
	s_load_b64 s[2:3], s[0:1], 0x0
	s_bfe_u32 s4, ttmp6, 0x4000c
	s_and_b32 s5, ttmp6, 15
	s_add_co_i32 s6, s4, 1
	s_getreg_b32 s4, hwreg(HW_REG_IB_STS2, 6, 4)
	s_mul_i32 s6, ttmp9, s6
	v_and_b32_e32 v1, 0x3ff, v0
	s_add_co_i32 s5, s5, s6
	s_cmp_eq_u32 s4, 0
	v_mov_b32_e32 v3, 0
	s_cselect_b32 s5, ttmp9, s5
	s_delay_alu instid0(SALU_CYCLE_1)
	v_lshl_add_u32 v2, s5, 7, v1
	s_wait_kmcnt 0x0
	s_ashr_i32 s7, s2, 31
	s_mov_b32 s6, s2
	s_mov_b32 s2, exec_lo
	v_cmpx_gt_i64_e64 s[6:7], v[2:3]
	s_cbranch_execz .LBB185_12
; %bb.1:
	s_load_b32 s2, s[0:1], 0x50
	s_bfe_u32 s5, ttmp6, 0x40014
	v_lshrrev_b32_e32 v0, 8, v0
	s_lshr_b32 s6, ttmp7, 16
	s_add_co_i32 s5, s5, 1
	s_bfe_u32 s7, ttmp6, 0x40008
	s_mul_i32 s5, s6, s5
	v_and_b32_e32 v0, 0xffc, v0
	s_add_co_i32 s7, s7, s5
	s_cmp_eq_u32 s4, 0
	s_cselect_b32 s4, s6, s7
	s_delay_alu instid0(VALU_DEP_1) | instid1(SALU_CYCLE_1)
	v_lshl_add_u32 v4, s4, 5, v0
	s_wait_kmcnt 0x0
	s_delay_alu instid0(VALU_DEP_1)
	v_cmp_gt_u32_e32 vcc_lo, s2, v4
	s_and_b32 exec_lo, exec_lo, vcc_lo
	s_cbranch_execz .LBB185_12
; %bb.2:
	s_clause 0x2
	s_load_b32 s4, s[0:1], 0x20
	s_load_b32 s6, s[0:1], 0x40
	;; [unrolled: 1-line block ×3, first 2 shown]
	s_wait_kmcnt 0x0
	s_ashr_i32 s5, s4, 31
	s_ashr_i32 s7, s6, 31
	v_mul_u64_e32 v[0:1], s[4:5], v[2:3]
	v_mul_u64_e32 v[2:3], s[6:7], v[2:3]
	s_clause 0x1
	s_load_b128 s[4:7], s[0:1], 0x10
	s_load_b128 s[8:11], s[0:1], 0x30
	s_cmp_neq_f16 s3, 0
	s_wait_xcnt 0x0
	s_cvt_f32_f16 s1, s3
	s_mov_b32 s3, 0
	s_cselect_b32 s0, -1, 0
	s_lshl_b32 s12, s12, 5
	s_branch .LBB185_4
.LBB185_3:                              ;   in Loop: Header=BB185_4 Depth=1
	s_wait_xcnt 0x0
	s_or_b32 exec_lo, exec_lo, s13
	v_add_nc_u32_e32 v4, s12, v4
	s_delay_alu instid0(VALU_DEP_1) | instskip(SKIP_1) | instid1(SALU_CYCLE_1)
	v_cmp_le_u32_e32 vcc_lo, s2, v4
	s_or_b32 s3, vcc_lo, s3
	s_and_not1_b32 exec_lo, exec_lo, s3
	s_cbranch_execz .LBB185_12
.LBB185_4:                              ; =>This Inner Loop Header: Depth=1
	s_and_not1_b32 vcc_lo, exec_lo, s0
	s_cbranch_vccnz .LBB185_6
; %bb.5:                                ;   in Loop: Header=BB185_4 Depth=1
	s_wait_kmcnt 0x0
	s_clause 0x1
	global_load_b64 v[6:7], v4, s[8:9] scale_offset
	global_load_b64 v[8:9], v4, s[4:5] scale_offset
	s_wait_loadcnt 0x1
	v_lshl_add_u64 v[6:7], s[10:11], 1, v[6:7]
	s_wait_loadcnt 0x0
	v_lshl_add_u64 v[8:9], s[6:7], 1, v[8:9]
	s_delay_alu instid0(VALU_DEP_2) | instskip(NEXT) | instid1(VALU_DEP_2)
	v_lshl_add_u64 v[6:7], v[2:3], 1, v[6:7]
	v_lshl_add_u64 v[8:9], v[0:1], 1, v[8:9]
	flat_load_u16 v5, v[6:7]
	flat_load_u16 v10, v[8:9]
	s_wait_loadcnt_dscnt 0x0
	v_fma_mixlo_f16 v5, s1, v10, v5 op_sel_hi:[0,1,1]
	flat_store_b16 v[6:7], v5
.LBB185_6:                              ;   in Loop: Header=BB185_4 Depth=1
	s_wait_xcnt 0x0
	v_add_nc_u32_e32 v5, 1, v4
	s_delay_alu instid0(VALU_DEP_1) | instskip(SKIP_1) | instid1(SALU_CYCLE_1)
	v_cmp_gt_u32_e32 vcc_lo, s2, v5
	s_and_b32 s14, s0, vcc_lo
	s_and_saveexec_b32 s13, s14
	s_cbranch_execz .LBB185_8
; %bb.7:                                ;   in Loop: Header=BB185_4 Depth=1
	s_wait_kmcnt 0x0
	s_clause 0x1
	global_load_b64 v[6:7], v4, s[8:9] offset:8 scale_offset
	global_load_b64 v[8:9], v4, s[4:5] offset:8 scale_offset
	s_wait_loadcnt 0x1
	v_lshl_add_u64 v[6:7], s[10:11], 1, v[6:7]
	s_wait_loadcnt 0x0
	v_lshl_add_u64 v[8:9], s[6:7], 1, v[8:9]
	s_delay_alu instid0(VALU_DEP_2) | instskip(NEXT) | instid1(VALU_DEP_2)
	v_lshl_add_u64 v[6:7], v[2:3], 1, v[6:7]
	v_lshl_add_u64 v[8:9], v[0:1], 1, v[8:9]
	flat_load_u16 v5, v[6:7]
	flat_load_u16 v10, v[8:9]
	s_wait_loadcnt_dscnt 0x0
	v_fma_mixlo_f16 v5, s1, v10, v5 op_sel_hi:[0,1,1]
	flat_store_b16 v[6:7], v5
.LBB185_8:                              ;   in Loop: Header=BB185_4 Depth=1
	s_wait_xcnt 0x0
	s_or_b32 exec_lo, exec_lo, s13
	v_add_nc_u32_e32 v5, 2, v4
	s_delay_alu instid0(VALU_DEP_1) | instskip(SKIP_1) | instid1(SALU_CYCLE_1)
	v_cmp_gt_u32_e32 vcc_lo, s2, v5
	s_and_b32 s14, s0, vcc_lo
	s_and_saveexec_b32 s13, s14
	s_cbranch_execz .LBB185_10
; %bb.9:                                ;   in Loop: Header=BB185_4 Depth=1
	s_wait_kmcnt 0x0
	s_clause 0x1
	global_load_b64 v[6:7], v4, s[8:9] offset:16 scale_offset
	global_load_b64 v[8:9], v4, s[4:5] offset:16 scale_offset
	s_wait_loadcnt 0x1
	v_lshl_add_u64 v[6:7], s[10:11], 1, v[6:7]
	s_wait_loadcnt 0x0
	v_lshl_add_u64 v[8:9], s[6:7], 1, v[8:9]
	s_delay_alu instid0(VALU_DEP_2) | instskip(NEXT) | instid1(VALU_DEP_2)
	v_lshl_add_u64 v[6:7], v[2:3], 1, v[6:7]
	v_lshl_add_u64 v[8:9], v[0:1], 1, v[8:9]
	flat_load_u16 v5, v[6:7]
	flat_load_u16 v10, v[8:9]
	s_wait_loadcnt_dscnt 0x0
	v_fma_mixlo_f16 v5, s1, v10, v5 op_sel_hi:[0,1,1]
	flat_store_b16 v[6:7], v5
.LBB185_10:                             ;   in Loop: Header=BB185_4 Depth=1
	s_wait_xcnt 0x0
	s_or_b32 exec_lo, exec_lo, s13
	v_add_nc_u32_e32 v5, 3, v4
	s_delay_alu instid0(VALU_DEP_1) | instskip(SKIP_1) | instid1(SALU_CYCLE_1)
	v_cmp_gt_u32_e32 vcc_lo, s2, v5
	s_and_b32 s14, s0, vcc_lo
	s_and_saveexec_b32 s13, s14
	s_cbranch_execz .LBB185_3
; %bb.11:                               ;   in Loop: Header=BB185_4 Depth=1
	s_wait_kmcnt 0x0
	s_clause 0x1
	global_load_b64 v[6:7], v4, s[8:9] offset:24 scale_offset
	global_load_b64 v[8:9], v4, s[4:5] offset:24 scale_offset
	s_wait_loadcnt 0x1
	v_lshl_add_u64 v[6:7], s[10:11], 1, v[6:7]
	s_wait_loadcnt 0x0
	v_lshl_add_u64 v[8:9], s[6:7], 1, v[8:9]
	s_delay_alu instid0(VALU_DEP_2) | instskip(NEXT) | instid1(VALU_DEP_2)
	v_lshl_add_u64 v[6:7], v[2:3], 1, v[6:7]
	v_lshl_add_u64 v[8:9], v[0:1], 1, v[8:9]
	flat_load_u16 v5, v[6:7]
	flat_load_u16 v10, v[8:9]
	s_wait_loadcnt_dscnt 0x0
	v_fma_mixlo_f16 v5, s1, v10, v5 op_sel_hi:[0,1,1]
	flat_store_b16 v[6:7], v5
	s_branch .LBB185_3
.LBB185_12:
	s_endpgm
	.section	.rodata,"a",@progbits
	.p2align	6, 0x0
	.amdhsa_kernel _ZL27rocblas_axpy_kernel_batchedIiLi128ELi8EfDF16_PKPKDF16_PKPDF16_EviT3_lT4_lT_lT5_lS9_li
		.amdhsa_group_segment_fixed_size 0
		.amdhsa_private_segment_fixed_size 0
		.amdhsa_kernarg_size 344
		.amdhsa_user_sgpr_count 2
		.amdhsa_user_sgpr_dispatch_ptr 0
		.amdhsa_user_sgpr_queue_ptr 0
		.amdhsa_user_sgpr_kernarg_segment_ptr 1
		.amdhsa_user_sgpr_dispatch_id 0
		.amdhsa_user_sgpr_kernarg_preload_length 0
		.amdhsa_user_sgpr_kernarg_preload_offset 0
		.amdhsa_user_sgpr_private_segment_size 0
		.amdhsa_wavefront_size32 1
		.amdhsa_uses_dynamic_stack 0
		.amdhsa_enable_private_segment 0
		.amdhsa_system_sgpr_workgroup_id_x 1
		.amdhsa_system_sgpr_workgroup_id_y 0
		.amdhsa_system_sgpr_workgroup_id_z 1
		.amdhsa_system_sgpr_workgroup_info 0
		.amdhsa_system_vgpr_workitem_id 1
		.amdhsa_next_free_vgpr 11
		.amdhsa_next_free_sgpr 15
		.amdhsa_named_barrier_count 0
		.amdhsa_reserve_vcc 1
		.amdhsa_float_round_mode_32 0
		.amdhsa_float_round_mode_16_64 0
		.amdhsa_float_denorm_mode_32 3
		.amdhsa_float_denorm_mode_16_64 3
		.amdhsa_fp16_overflow 0
		.amdhsa_memory_ordered 1
		.amdhsa_forward_progress 1
		.amdhsa_inst_pref_size 8
		.amdhsa_round_robin_scheduling 0
		.amdhsa_exception_fp_ieee_invalid_op 0
		.amdhsa_exception_fp_denorm_src 0
		.amdhsa_exception_fp_ieee_div_zero 0
		.amdhsa_exception_fp_ieee_overflow 0
		.amdhsa_exception_fp_ieee_underflow 0
		.amdhsa_exception_fp_ieee_inexact 0
		.amdhsa_exception_int_div_zero 0
	.end_amdhsa_kernel
	.section	.text._ZL27rocblas_axpy_kernel_batchedIiLi128ELi8EfDF16_PKPKDF16_PKPDF16_EviT3_lT4_lT_lT5_lS9_li,"axG",@progbits,_ZL27rocblas_axpy_kernel_batchedIiLi128ELi8EfDF16_PKPKDF16_PKPDF16_EviT3_lT4_lT_lT5_lS9_li,comdat
.Lfunc_end185:
	.size	_ZL27rocblas_axpy_kernel_batchedIiLi128ELi8EfDF16_PKPKDF16_PKPDF16_EviT3_lT4_lT_lT5_lS9_li, .Lfunc_end185-_ZL27rocblas_axpy_kernel_batchedIiLi128ELi8EfDF16_PKPKDF16_PKPDF16_EviT3_lT4_lT_lT5_lS9_li
                                        ; -- End function
	.set _ZL27rocblas_axpy_kernel_batchedIiLi128ELi8EfDF16_PKPKDF16_PKPDF16_EviT3_lT4_lT_lT5_lS9_li.num_vgpr, 11
	.set _ZL27rocblas_axpy_kernel_batchedIiLi128ELi8EfDF16_PKPKDF16_PKPDF16_EviT3_lT4_lT_lT5_lS9_li.num_agpr, 0
	.set _ZL27rocblas_axpy_kernel_batchedIiLi128ELi8EfDF16_PKPKDF16_PKPDF16_EviT3_lT4_lT_lT5_lS9_li.numbered_sgpr, 15
	.set _ZL27rocblas_axpy_kernel_batchedIiLi128ELi8EfDF16_PKPKDF16_PKPDF16_EviT3_lT4_lT_lT5_lS9_li.num_named_barrier, 0
	.set _ZL27rocblas_axpy_kernel_batchedIiLi128ELi8EfDF16_PKPKDF16_PKPDF16_EviT3_lT4_lT_lT5_lS9_li.private_seg_size, 0
	.set _ZL27rocblas_axpy_kernel_batchedIiLi128ELi8EfDF16_PKPKDF16_PKPDF16_EviT3_lT4_lT_lT5_lS9_li.uses_vcc, 1
	.set _ZL27rocblas_axpy_kernel_batchedIiLi128ELi8EfDF16_PKPKDF16_PKPDF16_EviT3_lT4_lT_lT5_lS9_li.uses_flat_scratch, 0
	.set _ZL27rocblas_axpy_kernel_batchedIiLi128ELi8EfDF16_PKPKDF16_PKPDF16_EviT3_lT4_lT_lT5_lS9_li.has_dyn_sized_stack, 0
	.set _ZL27rocblas_axpy_kernel_batchedIiLi128ELi8EfDF16_PKPKDF16_PKPDF16_EviT3_lT4_lT_lT5_lS9_li.has_recursion, 0
	.set _ZL27rocblas_axpy_kernel_batchedIiLi128ELi8EfDF16_PKPKDF16_PKPDF16_EviT3_lT4_lT_lT5_lS9_li.has_indirect_call, 0
	.section	.AMDGPU.csdata,"",@progbits
; Kernel info:
; codeLenInByte = 920
; TotalNumSgprs: 17
; NumVgprs: 11
; ScratchSize: 0
; MemoryBound: 0
; FloatMode: 240
; IeeeMode: 1
; LDSByteSize: 0 bytes/workgroup (compile time only)
; SGPRBlocks: 0
; VGPRBlocks: 0
; NumSGPRsForWavesPerEU: 17
; NumVGPRsForWavesPerEU: 11
; NamedBarCnt: 0
; Occupancy: 16
; WaveLimiterHint : 1
; COMPUTE_PGM_RSRC2:SCRATCH_EN: 0
; COMPUTE_PGM_RSRC2:USER_SGPR: 2
; COMPUTE_PGM_RSRC2:TRAP_HANDLER: 0
; COMPUTE_PGM_RSRC2:TGID_X_EN: 1
; COMPUTE_PGM_RSRC2:TGID_Y_EN: 0
; COMPUTE_PGM_RSRC2:TGID_Z_EN: 1
; COMPUTE_PGM_RSRC2:TIDIG_COMP_CNT: 1
	.section	.text._ZL19rocblas_axpy_kernelIiLi256EfPKDF16_PKS1_PKPDF16_EviT2_lT3_lT_lT4_lS9_li,"axG",@progbits,_ZL19rocblas_axpy_kernelIiLi256EfPKDF16_PKS1_PKPDF16_EviT2_lT3_lT_lT4_lS9_li,comdat
	.globl	_ZL19rocblas_axpy_kernelIiLi256EfPKDF16_PKS1_PKPDF16_EviT2_lT3_lT_lT4_lS9_li ; -- Begin function _ZL19rocblas_axpy_kernelIiLi256EfPKDF16_PKS1_PKPDF16_EviT2_lT3_lT_lT4_lS9_li
	.p2align	8
	.type	_ZL19rocblas_axpy_kernelIiLi256EfPKDF16_PKS1_PKPDF16_EviT2_lT3_lT_lT4_lS9_li,@function
_ZL19rocblas_axpy_kernelIiLi256EfPKDF16_PKS1_PKPDF16_EviT2_lT3_lT_lT4_lS9_li: ; @_ZL19rocblas_axpy_kernelIiLi256EfPKDF16_PKS1_PKPDF16_EviT2_lT3_lT_lT4_lS9_li
; %bb.0:
	s_load_b32 s16, s[0:1], 0x58
	s_bfe_u32 s2, ttmp6, 0x40014
	s_lshr_b32 s3, ttmp7, 16
	s_add_co_i32 s2, s2, 1
	s_bfe_u32 s5, ttmp6, 0x40008
	s_mul_i32 s2, s3, s2
	s_getreg_b32 s4, hwreg(HW_REG_IB_STS2, 6, 4)
	s_add_co_i32 s5, s5, s2
	s_cmp_eq_u32 s4, 0
	s_cselect_b32 s2, s3, s5
	s_mov_b32 s3, 0
	s_wait_kmcnt 0x0
	s_cmp_ge_u32 s2, s16
	s_cbranch_scc1 .LBB186_5
; %bb.1:
	s_clause 0x2
	s_load_b32 s18, s[0:1], 0x0
	s_load_b32 s6, s[0:1], 0x48
	;; [unrolled: 1-line block ×3, first 2 shown]
	s_bfe_u32 s5, ttmp6, 0x4000c
	s_and_b32 s7, ttmp6, 15
	s_add_co_i32 s5, s5, 1
	v_mov_b32_e32 v1, 0
	s_mul_i32 s5, ttmp9, s5
	s_delay_alu instid0(SALU_CYCLE_1)
	s_add_co_i32 s5, s7, s5
	s_wait_kmcnt 0x0
	s_ashr_i32 s19, s18, 31
	s_ashr_i32 s7, s6, 31
	;; [unrolled: 1-line block ×3, first 2 shown]
	s_cmp_eq_u32 s4, 0
	s_cselect_b32 s4, ttmp9, s5
	s_delay_alu instid0(SALU_CYCLE_1) | instskip(NEXT) | instid1(VALU_DEP_1)
	v_lshl_or_b32 v0, s4, 8, v0
	v_mul_u64_e32 v[2:3], s[8:9], v[0:1]
	v_mul_u64_e32 v[4:5], s[6:7], v[0:1]
	s_clause 0x1
	s_load_b256 s[4:11], s[0:1], 0x8
	s_load_b128 s[12:15], s[0:1], 0x38
	v_cmp_gt_i64_e32 vcc_lo, s[18:19], v[0:1]
	s_wait_kmcnt 0x0
	s_lshl_b64 s[0:1], s[10:11], 1
	s_lshl_b64 s[10:11], s[14:15], 1
	s_branch .LBB186_3
.LBB186_2:                              ;   in Loop: Header=BB186_3 Depth=1
	s_wait_xcnt 0x0
	s_or_b32 exec_lo, exec_lo, s14
	s_add_co_i32 s2, s2, 0x10000
	s_delay_alu instid0(SALU_CYCLE_1)
	s_cmp_lt_u32 s2, s16
	s_cbranch_scc0 .LBB186_5
.LBB186_3:                              ; =>This Inner Loop Header: Depth=1
	s_mul_u64 s[14:15], s[6:7], s[2:3]
	s_delay_alu instid0(SALU_CYCLE_1) | instskip(NEXT) | instid1(SALU_CYCLE_1)
	s_lshl_b64 s[14:15], s[14:15], 1
	s_add_nc_u64 s[14:15], s[4:5], s[14:15]
	global_load_u16 v0, v1, s[14:15]
	s_wait_loadcnt 0x0
	s_wait_xcnt 0x0
	v_readfirstlane_b32 s14, v0
	s_cmp_neq_f16 s14, 0
	s_cselect_b32 s14, -1, 0
	s_delay_alu instid0(SALU_CYCLE_1) | instskip(NEXT) | instid1(SALU_CYCLE_1)
	s_and_b32 s15, vcc_lo, s14
	s_and_saveexec_b32 s14, s15
	s_cbranch_execz .LBB186_2
; %bb.4:                                ;   in Loop: Header=BB186_3 Depth=1
	s_lshl_b64 s[18:19], s[2:3], 3
	s_delay_alu instid0(SALU_CYCLE_1)
	s_add_nc_u64 s[20:21], s[12:13], s[18:19]
	s_add_nc_u64 s[18:19], s[8:9], s[18:19]
	s_load_b64 s[22:23], s[20:21], 0x0
	s_load_b64 s[24:25], s[18:19], 0x0
	s_wait_kmcnt 0x0
	s_wait_xcnt 0x0
	s_add_nc_u64 s[18:19], s[22:23], s[10:11]
	s_add_nc_u64 s[20:21], s[24:25], s[0:1]
	v_lshl_add_u64 v[6:7], v[4:5], 1, s[18:19]
	v_lshl_add_u64 v[8:9], v[2:3], 1, s[20:21]
	flat_load_u16 v10, v[6:7]
	flat_load_u16 v11, v[8:9]
	s_wait_loadcnt_dscnt 0x0
	v_fma_mixlo_f16 v0, v0, v11, v10 op_sel_hi:[1,1,1]
	flat_store_b16 v[6:7], v0
	s_branch .LBB186_2
.LBB186_5:
	s_endpgm
	.section	.rodata,"a",@progbits
	.p2align	6, 0x0
	.amdhsa_kernel _ZL19rocblas_axpy_kernelIiLi256EfPKDF16_PKS1_PKPDF16_EviT2_lT3_lT_lT4_lS9_li
		.amdhsa_group_segment_fixed_size 0
		.amdhsa_private_segment_fixed_size 0
		.amdhsa_kernarg_size 92
		.amdhsa_user_sgpr_count 2
		.amdhsa_user_sgpr_dispatch_ptr 0
		.amdhsa_user_sgpr_queue_ptr 0
		.amdhsa_user_sgpr_kernarg_segment_ptr 1
		.amdhsa_user_sgpr_dispatch_id 0
		.amdhsa_user_sgpr_kernarg_preload_length 0
		.amdhsa_user_sgpr_kernarg_preload_offset 0
		.amdhsa_user_sgpr_private_segment_size 0
		.amdhsa_wavefront_size32 1
		.amdhsa_uses_dynamic_stack 0
		.amdhsa_enable_private_segment 0
		.amdhsa_system_sgpr_workgroup_id_x 1
		.amdhsa_system_sgpr_workgroup_id_y 0
		.amdhsa_system_sgpr_workgroup_id_z 1
		.amdhsa_system_sgpr_workgroup_info 0
		.amdhsa_system_vgpr_workitem_id 0
		.amdhsa_next_free_vgpr 12
		.amdhsa_next_free_sgpr 26
		.amdhsa_named_barrier_count 0
		.amdhsa_reserve_vcc 1
		.amdhsa_float_round_mode_32 0
		.amdhsa_float_round_mode_16_64 0
		.amdhsa_float_denorm_mode_32 3
		.amdhsa_float_denorm_mode_16_64 3
		.amdhsa_fp16_overflow 0
		.amdhsa_memory_ordered 1
		.amdhsa_forward_progress 1
		.amdhsa_inst_pref_size 4
		.amdhsa_round_robin_scheduling 0
		.amdhsa_exception_fp_ieee_invalid_op 0
		.amdhsa_exception_fp_denorm_src 0
		.amdhsa_exception_fp_ieee_div_zero 0
		.amdhsa_exception_fp_ieee_overflow 0
		.amdhsa_exception_fp_ieee_underflow 0
		.amdhsa_exception_fp_ieee_inexact 0
		.amdhsa_exception_int_div_zero 0
	.end_amdhsa_kernel
	.section	.text._ZL19rocblas_axpy_kernelIiLi256EfPKDF16_PKS1_PKPDF16_EviT2_lT3_lT_lT4_lS9_li,"axG",@progbits,_ZL19rocblas_axpy_kernelIiLi256EfPKDF16_PKS1_PKPDF16_EviT2_lT3_lT_lT4_lS9_li,comdat
.Lfunc_end186:
	.size	_ZL19rocblas_axpy_kernelIiLi256EfPKDF16_PKS1_PKPDF16_EviT2_lT3_lT_lT4_lS9_li, .Lfunc_end186-_ZL19rocblas_axpy_kernelIiLi256EfPKDF16_PKS1_PKPDF16_EviT2_lT3_lT_lT4_lS9_li
                                        ; -- End function
	.set _ZL19rocblas_axpy_kernelIiLi256EfPKDF16_PKS1_PKPDF16_EviT2_lT3_lT_lT4_lS9_li.num_vgpr, 12
	.set _ZL19rocblas_axpy_kernelIiLi256EfPKDF16_PKS1_PKPDF16_EviT2_lT3_lT_lT4_lS9_li.num_agpr, 0
	.set _ZL19rocblas_axpy_kernelIiLi256EfPKDF16_PKS1_PKPDF16_EviT2_lT3_lT_lT4_lS9_li.numbered_sgpr, 26
	.set _ZL19rocblas_axpy_kernelIiLi256EfPKDF16_PKS1_PKPDF16_EviT2_lT3_lT_lT4_lS9_li.num_named_barrier, 0
	.set _ZL19rocblas_axpy_kernelIiLi256EfPKDF16_PKS1_PKPDF16_EviT2_lT3_lT_lT4_lS9_li.private_seg_size, 0
	.set _ZL19rocblas_axpy_kernelIiLi256EfPKDF16_PKS1_PKPDF16_EviT2_lT3_lT_lT4_lS9_li.uses_vcc, 1
	.set _ZL19rocblas_axpy_kernelIiLi256EfPKDF16_PKS1_PKPDF16_EviT2_lT3_lT_lT4_lS9_li.uses_flat_scratch, 0
	.set _ZL19rocblas_axpy_kernelIiLi256EfPKDF16_PKS1_PKPDF16_EviT2_lT3_lT_lT4_lS9_li.has_dyn_sized_stack, 0
	.set _ZL19rocblas_axpy_kernelIiLi256EfPKDF16_PKS1_PKPDF16_EviT2_lT3_lT_lT4_lS9_li.has_recursion, 0
	.set _ZL19rocblas_axpy_kernelIiLi256EfPKDF16_PKS1_PKPDF16_EviT2_lT3_lT_lT4_lS9_li.has_indirect_call, 0
	.section	.AMDGPU.csdata,"",@progbits
; Kernel info:
; codeLenInByte = 424
; TotalNumSgprs: 28
; NumVgprs: 12
; ScratchSize: 0
; MemoryBound: 0
; FloatMode: 240
; IeeeMode: 1
; LDSByteSize: 0 bytes/workgroup (compile time only)
; SGPRBlocks: 0
; VGPRBlocks: 0
; NumSGPRsForWavesPerEU: 28
; NumVGPRsForWavesPerEU: 12
; NamedBarCnt: 0
; Occupancy: 16
; WaveLimiterHint : 1
; COMPUTE_PGM_RSRC2:SCRATCH_EN: 0
; COMPUTE_PGM_RSRC2:USER_SGPR: 2
; COMPUTE_PGM_RSRC2:TRAP_HANDLER: 0
; COMPUTE_PGM_RSRC2:TGID_X_EN: 1
; COMPUTE_PGM_RSRC2:TGID_Y_EN: 0
; COMPUTE_PGM_RSRC2:TGID_Z_EN: 1
; COMPUTE_PGM_RSRC2:TIDIG_COMP_CNT: 0
	.section	.text._ZL19rocblas_axpy_kernelIiLi256EfDF16_PKPKDF16_PKPDF16_EviT2_lT3_lT_lT4_lS9_li,"axG",@progbits,_ZL19rocblas_axpy_kernelIiLi256EfDF16_PKPKDF16_PKPDF16_EviT2_lT3_lT_lT4_lS9_li,comdat
	.globl	_ZL19rocblas_axpy_kernelIiLi256EfDF16_PKPKDF16_PKPDF16_EviT2_lT3_lT_lT4_lS9_li ; -- Begin function _ZL19rocblas_axpy_kernelIiLi256EfDF16_PKPKDF16_PKPDF16_EviT2_lT3_lT_lT4_lS9_li
	.p2align	8
	.type	_ZL19rocblas_axpy_kernelIiLi256EfDF16_PKPKDF16_PKPDF16_EviT2_lT3_lT_lT4_lS9_li,@function
_ZL19rocblas_axpy_kernelIiLi256EfDF16_PKPKDF16_PKPDF16_EviT2_lT3_lT_lT4_lS9_li: ; @_ZL19rocblas_axpy_kernelIiLi256EfDF16_PKPKDF16_PKPDF16_EviT2_lT3_lT_lT4_lS9_li
; %bb.0:
	s_load_b32 s12, s[0:1], 0x50
	s_bfe_u32 s2, ttmp6, 0x40014
	s_lshr_b32 s3, ttmp7, 16
	s_add_co_i32 s2, s2, 1
	s_bfe_u32 s5, ttmp6, 0x40008
	s_mul_i32 s4, s3, s2
	s_getreg_b32 s2, hwreg(HW_REG_IB_STS2, 6, 4)
	s_add_co_i32 s5, s5, s4
	s_cmp_eq_u32 s2, 0
	s_cselect_b32 s13, s3, s5
	s_wait_kmcnt 0x0
	s_cmp_ge_u32 s13, s12
	s_cbranch_scc1 .LBB187_5
; %bb.1:
	s_clause 0x1
	s_load_b32 s4, s[0:1], 0x40
	s_load_b32 s6, s[0:1], 0x20
	s_bfe_u32 s3, ttmp6, 0x4000c
	s_and_b32 s5, ttmp6, 15
	s_add_co_i32 s3, s3, 1
	v_mov_b32_e32 v5, 0
	s_mul_i32 s3, ttmp9, s3
	s_delay_alu instid0(SALU_CYCLE_1)
	s_add_co_i32 s8, s5, s3
	s_wait_kmcnt 0x0
	s_ashr_i32 s5, s4, 31
	s_ashr_i32 s7, s6, 31
	s_cmp_eq_u32 s2, 0
	s_load_b64 s[2:3], s[0:1], 0x0
	s_cselect_b32 s8, ttmp9, s8
	s_delay_alu instid0(SALU_CYCLE_1) | instskip(NEXT) | instid1(VALU_DEP_1)
	v_lshl_or_b32 v4, s8, 8, v0
	v_mul_u64_e32 v[0:1], s[6:7], v[4:5]
	v_mul_u64_e32 v[2:3], s[4:5], v[4:5]
	s_clause 0x1
	s_load_b128 s[4:7], s[0:1], 0x10
	s_load_b128 s[8:11], s[0:1], 0x30
	s_wait_kmcnt 0x0
	s_cmp_neq_f16 s3, 0
	s_mov_b32 s0, s2
	s_cvt_f32_f16 s15, s3
	s_cselect_b32 s14, -1, 0
	s_ashr_i32 s1, s2, 31
	s_delay_alu instid0(SALU_CYCLE_1)
	v_cmp_gt_i64_e32 vcc_lo, s[0:1], v[4:5]
	s_lshl_b64 s[0:1], s[6:7], 1
	s_lshl_b64 s[2:3], s[10:11], 1
	s_and_b32 s14, s14, vcc_lo
	s_branch .LBB187_3
.LBB187_2:                              ;   in Loop: Header=BB187_3 Depth=1
	s_wait_xcnt 0x0
	s_or_b32 exec_lo, exec_lo, s6
	s_add_co_i32 s13, s13, 0x10000
	s_delay_alu instid0(SALU_CYCLE_1)
	s_cmp_lt_u32 s13, s12
	s_cbranch_scc0 .LBB187_5
.LBB187_3:                              ; =>This Inner Loop Header: Depth=1
	s_and_saveexec_b32 s6, s14
	s_cbranch_execz .LBB187_2
; %bb.4:                                ;   in Loop: Header=BB187_3 Depth=1
	s_load_b64 s[10:11], s[8:9], s13 offset:0x0 scale_offset
	s_load_b64 s[16:17], s[4:5], s13 offset:0x0 scale_offset
	s_wait_kmcnt 0x0
	s_add_nc_u64 s[10:11], s[10:11], s[2:3]
	s_add_nc_u64 s[16:17], s[16:17], s[0:1]
	s_delay_alu instid0(VALU_DEP_2) | instskip(NEXT) | instid1(VALU_DEP_4)
	v_lshl_add_u64 v[4:5], v[2:3], 1, s[10:11]
	v_lshl_add_u64 v[6:7], v[0:1], 1, s[16:17]
	flat_load_u16 v8, v[4:5]
	flat_load_u16 v9, v[6:7]
	s_wait_loadcnt_dscnt 0x0
	s_wait_xcnt 0x0
	v_fma_mixlo_f16 v6, s15, v9, v8 op_sel_hi:[0,1,1]
	flat_store_b16 v[4:5], v6
	s_branch .LBB187_2
.LBB187_5:
	s_endpgm
	.section	.rodata,"a",@progbits
	.p2align	6, 0x0
	.amdhsa_kernel _ZL19rocblas_axpy_kernelIiLi256EfDF16_PKPKDF16_PKPDF16_EviT2_lT3_lT_lT4_lS9_li
		.amdhsa_group_segment_fixed_size 0
		.amdhsa_private_segment_fixed_size 0
		.amdhsa_kernarg_size 84
		.amdhsa_user_sgpr_count 2
		.amdhsa_user_sgpr_dispatch_ptr 0
		.amdhsa_user_sgpr_queue_ptr 0
		.amdhsa_user_sgpr_kernarg_segment_ptr 1
		.amdhsa_user_sgpr_dispatch_id 0
		.amdhsa_user_sgpr_kernarg_preload_length 0
		.amdhsa_user_sgpr_kernarg_preload_offset 0
		.amdhsa_user_sgpr_private_segment_size 0
		.amdhsa_wavefront_size32 1
		.amdhsa_uses_dynamic_stack 0
		.amdhsa_enable_private_segment 0
		.amdhsa_system_sgpr_workgroup_id_x 1
		.amdhsa_system_sgpr_workgroup_id_y 0
		.amdhsa_system_sgpr_workgroup_id_z 1
		.amdhsa_system_sgpr_workgroup_info 0
		.amdhsa_system_vgpr_workitem_id 0
		.amdhsa_next_free_vgpr 10
		.amdhsa_next_free_sgpr 18
		.amdhsa_named_barrier_count 0
		.amdhsa_reserve_vcc 1
		.amdhsa_float_round_mode_32 0
		.amdhsa_float_round_mode_16_64 0
		.amdhsa_float_denorm_mode_32 3
		.amdhsa_float_denorm_mode_16_64 3
		.amdhsa_fp16_overflow 0
		.amdhsa_memory_ordered 1
		.amdhsa_forward_progress 1
		.amdhsa_inst_pref_size 3
		.amdhsa_round_robin_scheduling 0
		.amdhsa_exception_fp_ieee_invalid_op 0
		.amdhsa_exception_fp_denorm_src 0
		.amdhsa_exception_fp_ieee_div_zero 0
		.amdhsa_exception_fp_ieee_overflow 0
		.amdhsa_exception_fp_ieee_underflow 0
		.amdhsa_exception_fp_ieee_inexact 0
		.amdhsa_exception_int_div_zero 0
	.end_amdhsa_kernel
	.section	.text._ZL19rocblas_axpy_kernelIiLi256EfDF16_PKPKDF16_PKPDF16_EviT2_lT3_lT_lT4_lS9_li,"axG",@progbits,_ZL19rocblas_axpy_kernelIiLi256EfDF16_PKPKDF16_PKPDF16_EviT2_lT3_lT_lT4_lS9_li,comdat
.Lfunc_end187:
	.size	_ZL19rocblas_axpy_kernelIiLi256EfDF16_PKPKDF16_PKPDF16_EviT2_lT3_lT_lT4_lS9_li, .Lfunc_end187-_ZL19rocblas_axpy_kernelIiLi256EfDF16_PKPKDF16_PKPDF16_EviT2_lT3_lT_lT4_lS9_li
                                        ; -- End function
	.set _ZL19rocblas_axpy_kernelIiLi256EfDF16_PKPKDF16_PKPDF16_EviT2_lT3_lT_lT4_lS9_li.num_vgpr, 10
	.set _ZL19rocblas_axpy_kernelIiLi256EfDF16_PKPKDF16_PKPDF16_EviT2_lT3_lT_lT4_lS9_li.num_agpr, 0
	.set _ZL19rocblas_axpy_kernelIiLi256EfDF16_PKPKDF16_PKPDF16_EviT2_lT3_lT_lT4_lS9_li.numbered_sgpr, 18
	.set _ZL19rocblas_axpy_kernelIiLi256EfDF16_PKPKDF16_PKPDF16_EviT2_lT3_lT_lT4_lS9_li.num_named_barrier, 0
	.set _ZL19rocblas_axpy_kernelIiLi256EfDF16_PKPKDF16_PKPDF16_EviT2_lT3_lT_lT4_lS9_li.private_seg_size, 0
	.set _ZL19rocblas_axpy_kernelIiLi256EfDF16_PKPKDF16_PKPDF16_EviT2_lT3_lT_lT4_lS9_li.uses_vcc, 1
	.set _ZL19rocblas_axpy_kernelIiLi256EfDF16_PKPKDF16_PKPDF16_EviT2_lT3_lT_lT4_lS9_li.uses_flat_scratch, 0
	.set _ZL19rocblas_axpy_kernelIiLi256EfDF16_PKPKDF16_PKPDF16_EviT2_lT3_lT_lT4_lS9_li.has_dyn_sized_stack, 0
	.set _ZL19rocblas_axpy_kernelIiLi256EfDF16_PKPKDF16_PKPDF16_EviT2_lT3_lT_lT4_lS9_li.has_recursion, 0
	.set _ZL19rocblas_axpy_kernelIiLi256EfDF16_PKPKDF16_PKPDF16_EviT2_lT3_lT_lT4_lS9_li.has_indirect_call, 0
	.section	.AMDGPU.csdata,"",@progbits
; Kernel info:
; codeLenInByte = 376
; TotalNumSgprs: 20
; NumVgprs: 10
; ScratchSize: 0
; MemoryBound: 0
; FloatMode: 240
; IeeeMode: 1
; LDSByteSize: 0 bytes/workgroup (compile time only)
; SGPRBlocks: 0
; VGPRBlocks: 0
; NumSGPRsForWavesPerEU: 20
; NumVGPRsForWavesPerEU: 10
; NamedBarCnt: 0
; Occupancy: 16
; WaveLimiterHint : 1
; COMPUTE_PGM_RSRC2:SCRATCH_EN: 0
; COMPUTE_PGM_RSRC2:USER_SGPR: 2
; COMPUTE_PGM_RSRC2:TRAP_HANDLER: 0
; COMPUTE_PGM_RSRC2:TGID_X_EN: 1
; COMPUTE_PGM_RSRC2:TGID_Y_EN: 0
; COMPUTE_PGM_RSRC2:TGID_Z_EN: 1
; COMPUTE_PGM_RSRC2:TIDIG_COMP_CNT: 0
	.section	.text._ZL19rocblas_axpy_kernelIlLi256EfPKDF16_PKS1_PKPDF16_EviT2_lT3_lT_lT4_lS9_li,"axG",@progbits,_ZL19rocblas_axpy_kernelIlLi256EfPKDF16_PKS1_PKPDF16_EviT2_lT3_lT_lT4_lS9_li,comdat
	.globl	_ZL19rocblas_axpy_kernelIlLi256EfPKDF16_PKS1_PKPDF16_EviT2_lT3_lT_lT4_lS9_li ; -- Begin function _ZL19rocblas_axpy_kernelIlLi256EfPKDF16_PKS1_PKPDF16_EviT2_lT3_lT_lT4_lS9_li
	.p2align	8
	.type	_ZL19rocblas_axpy_kernelIlLi256EfPKDF16_PKS1_PKPDF16_EviT2_lT3_lT_lT4_lS9_li,@function
_ZL19rocblas_axpy_kernelIlLi256EfPKDF16_PKS1_PKPDF16_EviT2_lT3_lT_lT4_lS9_li: ; @_ZL19rocblas_axpy_kernelIlLi256EfPKDF16_PKS1_PKPDF16_EviT2_lT3_lT_lT4_lS9_li
; %bb.0:
	s_load_b32 s14, s[0:1], 0x58
	s_bfe_u32 s2, ttmp6, 0x40014
	s_lshr_b32 s3, ttmp7, 16
	s_add_co_i32 s2, s2, 1
	s_bfe_u32 s4, ttmp6, 0x40008
	s_mul_i32 s2, s3, s2
	s_getreg_b32 s8, hwreg(HW_REG_IB_STS2, 6, 4)
	s_add_co_i32 s4, s4, s2
	s_cmp_eq_u32 s8, 0
	s_cselect_b32 s2, s3, s4
	s_mov_b32 s3, 0
	s_wait_kmcnt 0x0
	s_cmp_ge_u32 s2, s14
	s_cbranch_scc1 .LBB188_5
; %bb.1:
	s_clause 0x2
	s_load_b32 s12, s[0:1], 0x0
	s_load_b128 s[16:19], s[0:1], 0x20
	s_load_b128 s[20:23], s[0:1], 0x40
	s_bfe_u32 s4, ttmp6, 0x4000c
	s_and_b32 s9, ttmp6, 15
	s_add_co_i32 s4, s4, 1
	v_mov_b32_e32 v1, 0
	s_mul_i32 s10, ttmp9, s4
	s_load_b128 s[4:7], s[0:1], 0x8
	s_add_co_i32 s9, s9, s10
	s_wait_kmcnt 0x0
	s_ashr_i32 s13, s12, 31
	s_cmp_eq_u32 s8, 0
	s_cselect_b32 s8, ttmp9, s9
	s_delay_alu instid0(SALU_CYCLE_1)
	v_lshl_or_b32 v0, s8, 8, v0
	s_clause 0x1
	s_load_b64 s[8:9], s[0:1], 0x18
	s_load_b64 s[10:11], s[0:1], 0x38
	s_wait_xcnt 0x0
	s_lshl_b64 s[0:1], s[16:17], 1
	v_mul_u64_e32 v[2:3], s[18:19], v[0:1]
	v_mul_u64_e32 v[4:5], s[22:23], v[0:1]
	v_cmp_gt_i64_e32 vcc_lo, s[12:13], v[0:1]
	s_lshl_b64 s[12:13], s[20:21], 1
	s_branch .LBB188_3
.LBB188_2:                              ;   in Loop: Header=BB188_3 Depth=1
	s_wait_xcnt 0x0
	s_or_b32 exec_lo, exec_lo, s15
	s_add_co_i32 s2, s2, 0x10000
	s_delay_alu instid0(SALU_CYCLE_1)
	s_cmp_lt_u32 s2, s14
	s_cbranch_scc0 .LBB188_5
.LBB188_3:                              ; =>This Inner Loop Header: Depth=1
	s_mul_u64 s[16:17], s[6:7], s[2:3]
	s_delay_alu instid0(SALU_CYCLE_1) | instskip(NEXT) | instid1(SALU_CYCLE_1)
	s_lshl_b64 s[16:17], s[16:17], 1
	s_add_nc_u64 s[16:17], s[4:5], s[16:17]
	global_load_u16 v0, v1, s[16:17]
	s_wait_loadcnt 0x0
	v_readfirstlane_b32 s15, v0
	s_cmp_neq_f16 s15, 0
	s_cselect_b32 s15, -1, 0
	s_wait_xcnt 0x0
	s_and_b32 s16, vcc_lo, s15
	s_delay_alu instid0(SALU_CYCLE_1)
	s_and_saveexec_b32 s15, s16
	s_cbranch_execz .LBB188_2
; %bb.4:                                ;   in Loop: Header=BB188_3 Depth=1
	s_lshl_b64 s[16:17], s[2:3], 3
	s_wait_kmcnt 0x0
	s_add_nc_u64 s[18:19], s[10:11], s[16:17]
	s_add_nc_u64 s[16:17], s[8:9], s[16:17]
	s_load_b64 s[20:21], s[18:19], 0x0
	s_load_b64 s[22:23], s[16:17], 0x0
	s_wait_kmcnt 0x0
	s_wait_xcnt 0x0
	s_add_nc_u64 s[16:17], s[20:21], s[12:13]
	s_add_nc_u64 s[18:19], s[22:23], s[0:1]
	v_lshl_add_u64 v[6:7], v[4:5], 1, s[16:17]
	v_lshl_add_u64 v[8:9], v[2:3], 1, s[18:19]
	flat_load_u16 v10, v[6:7]
	flat_load_u16 v11, v[8:9]
	s_wait_loadcnt_dscnt 0x0
	v_fma_mixlo_f16 v0, v0, v11, v10 op_sel_hi:[1,1,1]
	flat_store_b16 v[6:7], v0
	s_branch .LBB188_2
.LBB188_5:
	s_endpgm
	.section	.rodata,"a",@progbits
	.p2align	6, 0x0
	.amdhsa_kernel _ZL19rocblas_axpy_kernelIlLi256EfPKDF16_PKS1_PKPDF16_EviT2_lT3_lT_lT4_lS9_li
		.amdhsa_group_segment_fixed_size 0
		.amdhsa_private_segment_fixed_size 0
		.amdhsa_kernarg_size 92
		.amdhsa_user_sgpr_count 2
		.amdhsa_user_sgpr_dispatch_ptr 0
		.amdhsa_user_sgpr_queue_ptr 0
		.amdhsa_user_sgpr_kernarg_segment_ptr 1
		.amdhsa_user_sgpr_dispatch_id 0
		.amdhsa_user_sgpr_kernarg_preload_length 0
		.amdhsa_user_sgpr_kernarg_preload_offset 0
		.amdhsa_user_sgpr_private_segment_size 0
		.amdhsa_wavefront_size32 1
		.amdhsa_uses_dynamic_stack 0
		.amdhsa_enable_private_segment 0
		.amdhsa_system_sgpr_workgroup_id_x 1
		.amdhsa_system_sgpr_workgroup_id_y 0
		.amdhsa_system_sgpr_workgroup_id_z 1
		.amdhsa_system_sgpr_workgroup_info 0
		.amdhsa_system_vgpr_workitem_id 0
		.amdhsa_next_free_vgpr 12
		.amdhsa_next_free_sgpr 24
		.amdhsa_named_barrier_count 0
		.amdhsa_reserve_vcc 1
		.amdhsa_float_round_mode_32 0
		.amdhsa_float_round_mode_16_64 0
		.amdhsa_float_denorm_mode_32 3
		.amdhsa_float_denorm_mode_16_64 3
		.amdhsa_fp16_overflow 0
		.amdhsa_memory_ordered 1
		.amdhsa_forward_progress 1
		.amdhsa_inst_pref_size 4
		.amdhsa_round_robin_scheduling 0
		.amdhsa_exception_fp_ieee_invalid_op 0
		.amdhsa_exception_fp_denorm_src 0
		.amdhsa_exception_fp_ieee_div_zero 0
		.amdhsa_exception_fp_ieee_overflow 0
		.amdhsa_exception_fp_ieee_underflow 0
		.amdhsa_exception_fp_ieee_inexact 0
		.amdhsa_exception_int_div_zero 0
	.end_amdhsa_kernel
	.section	.text._ZL19rocblas_axpy_kernelIlLi256EfPKDF16_PKS1_PKPDF16_EviT2_lT3_lT_lT4_lS9_li,"axG",@progbits,_ZL19rocblas_axpy_kernelIlLi256EfPKDF16_PKS1_PKPDF16_EviT2_lT3_lT_lT4_lS9_li,comdat
.Lfunc_end188:
	.size	_ZL19rocblas_axpy_kernelIlLi256EfPKDF16_PKS1_PKPDF16_EviT2_lT3_lT_lT4_lS9_li, .Lfunc_end188-_ZL19rocblas_axpy_kernelIlLi256EfPKDF16_PKS1_PKPDF16_EviT2_lT3_lT_lT4_lS9_li
                                        ; -- End function
	.set _ZL19rocblas_axpy_kernelIlLi256EfPKDF16_PKS1_PKPDF16_EviT2_lT3_lT_lT4_lS9_li.num_vgpr, 12
	.set _ZL19rocblas_axpy_kernelIlLi256EfPKDF16_PKS1_PKPDF16_EviT2_lT3_lT_lT4_lS9_li.num_agpr, 0
	.set _ZL19rocblas_axpy_kernelIlLi256EfPKDF16_PKS1_PKPDF16_EviT2_lT3_lT_lT4_lS9_li.numbered_sgpr, 24
	.set _ZL19rocblas_axpy_kernelIlLi256EfPKDF16_PKS1_PKPDF16_EviT2_lT3_lT_lT4_lS9_li.num_named_barrier, 0
	.set _ZL19rocblas_axpy_kernelIlLi256EfPKDF16_PKS1_PKPDF16_EviT2_lT3_lT_lT4_lS9_li.private_seg_size, 0
	.set _ZL19rocblas_axpy_kernelIlLi256EfPKDF16_PKS1_PKPDF16_EviT2_lT3_lT_lT4_lS9_li.uses_vcc, 1
	.set _ZL19rocblas_axpy_kernelIlLi256EfPKDF16_PKS1_PKPDF16_EviT2_lT3_lT_lT4_lS9_li.uses_flat_scratch, 0
	.set _ZL19rocblas_axpy_kernelIlLi256EfPKDF16_PKS1_PKPDF16_EviT2_lT3_lT_lT4_lS9_li.has_dyn_sized_stack, 0
	.set _ZL19rocblas_axpy_kernelIlLi256EfPKDF16_PKS1_PKPDF16_EviT2_lT3_lT_lT4_lS9_li.has_recursion, 0
	.set _ZL19rocblas_axpy_kernelIlLi256EfPKDF16_PKS1_PKPDF16_EviT2_lT3_lT_lT4_lS9_li.has_indirect_call, 0
	.section	.AMDGPU.csdata,"",@progbits
; Kernel info:
; codeLenInByte = 420
; TotalNumSgprs: 26
; NumVgprs: 12
; ScratchSize: 0
; MemoryBound: 0
; FloatMode: 240
; IeeeMode: 1
; LDSByteSize: 0 bytes/workgroup (compile time only)
; SGPRBlocks: 0
; VGPRBlocks: 0
; NumSGPRsForWavesPerEU: 26
; NumVGPRsForWavesPerEU: 12
; NamedBarCnt: 0
; Occupancy: 16
; WaveLimiterHint : 1
; COMPUTE_PGM_RSRC2:SCRATCH_EN: 0
; COMPUTE_PGM_RSRC2:USER_SGPR: 2
; COMPUTE_PGM_RSRC2:TRAP_HANDLER: 0
; COMPUTE_PGM_RSRC2:TGID_X_EN: 1
; COMPUTE_PGM_RSRC2:TGID_Y_EN: 0
; COMPUTE_PGM_RSRC2:TGID_Z_EN: 1
; COMPUTE_PGM_RSRC2:TIDIG_COMP_CNT: 0
	.section	.text._ZL19rocblas_axpy_kernelIlLi256EfDF16_PKPKDF16_PKPDF16_EviT2_lT3_lT_lT4_lS9_li,"axG",@progbits,_ZL19rocblas_axpy_kernelIlLi256EfDF16_PKPKDF16_PKPDF16_EviT2_lT3_lT_lT4_lS9_li,comdat
	.globl	_ZL19rocblas_axpy_kernelIlLi256EfDF16_PKPKDF16_PKPDF16_EviT2_lT3_lT_lT4_lS9_li ; -- Begin function _ZL19rocblas_axpy_kernelIlLi256EfDF16_PKPKDF16_PKPDF16_EviT2_lT3_lT_lT4_lS9_li
	.p2align	8
	.type	_ZL19rocblas_axpy_kernelIlLi256EfDF16_PKPKDF16_PKPDF16_EviT2_lT3_lT_lT4_lS9_li,@function
_ZL19rocblas_axpy_kernelIlLi256EfDF16_PKPKDF16_PKPDF16_EviT2_lT3_lT_lT4_lS9_li: ; @_ZL19rocblas_axpy_kernelIlLi256EfDF16_PKPKDF16_PKPDF16_EviT2_lT3_lT_lT4_lS9_li
; %bb.0:
	s_load_b32 s8, s[0:1], 0x50
	s_bfe_u32 s2, ttmp6, 0x40014
	s_lshr_b32 s3, ttmp7, 16
	s_add_co_i32 s2, s2, 1
	s_bfe_u32 s5, ttmp6, 0x40008
	s_mul_i32 s4, s3, s2
	s_getreg_b32 s2, hwreg(HW_REG_IB_STS2, 6, 4)
	s_add_co_i32 s5, s5, s4
	s_cmp_eq_u32 s2, 0
	s_cselect_b32 s9, s3, s5
	s_wait_kmcnt 0x0
	s_cmp_ge_u32 s9, s8
	s_cbranch_scc1 .LBB189_5
; %bb.1:
	s_clause 0x1
	s_load_b128 s[12:15], s[0:1], 0x18
	s_load_b128 s[16:19], s[0:1], 0x38
	s_bfe_u32 s3, ttmp6, 0x4000c
	s_and_b32 s4, ttmp6, 15
	s_add_co_i32 s3, s3, 1
	v_mov_b32_e32 v5, 0
	s_mul_i32 s3, ttmp9, s3
	s_load_b64 s[6:7], s[0:1], 0x0
	s_add_co_i32 s4, s4, s3
	s_cmp_eq_u32 s2, 0
	s_cselect_b32 s2, ttmp9, s4
	s_delay_alu instid0(SALU_CYCLE_1)
	v_lshl_or_b32 v4, s2, 8, v0
	s_clause 0x1
	s_load_b64 s[2:3], s[0:1], 0x10
	s_load_b64 s[4:5], s[0:1], 0x30
	s_wait_kmcnt 0x0
	v_mul_u64_e32 v[0:1], s[14:15], v[4:5]
	v_mul_u64_e32 v[2:3], s[18:19], v[4:5]
	s_cmp_neq_f16 s7, 0
	s_mov_b32 s0, s6
	s_cvt_f32_f16 s11, s7
	s_cselect_b32 s10, -1, 0
	s_ashr_i32 s1, s6, 31
	s_lshl_b64 s[6:7], s[16:17], 1
	v_cmp_gt_i64_e32 vcc_lo, s[0:1], v[4:5]
	s_lshl_b64 s[0:1], s[12:13], 1
	s_and_b32 s10, s10, vcc_lo
	s_branch .LBB189_3
.LBB189_2:                              ;   in Loop: Header=BB189_3 Depth=1
	s_wait_xcnt 0x0
	s_or_b32 exec_lo, exec_lo, s12
	s_add_co_i32 s9, s9, 0x10000
	s_delay_alu instid0(SALU_CYCLE_1)
	s_cmp_lt_u32 s9, s8
	s_cbranch_scc0 .LBB189_5
.LBB189_3:                              ; =>This Inner Loop Header: Depth=1
	s_and_saveexec_b32 s12, s10
	s_cbranch_execz .LBB189_2
; %bb.4:                                ;   in Loop: Header=BB189_3 Depth=1
	s_load_b64 s[14:15], s[4:5], s9 offset:0x0 scale_offset
	s_load_b64 s[16:17], s[2:3], s9 offset:0x0 scale_offset
	s_wait_kmcnt 0x0
	s_add_nc_u64 s[14:15], s[14:15], s[6:7]
	s_add_nc_u64 s[16:17], s[16:17], s[0:1]
	s_delay_alu instid0(VALU_DEP_2) | instskip(NEXT) | instid1(VALU_DEP_4)
	v_lshl_add_u64 v[4:5], v[2:3], 1, s[14:15]
	v_lshl_add_u64 v[6:7], v[0:1], 1, s[16:17]
	flat_load_u16 v8, v[4:5]
	flat_load_u16 v9, v[6:7]
	s_wait_loadcnt_dscnt 0x0
	s_wait_xcnt 0x0
	v_fma_mixlo_f16 v6, s11, v9, v8 op_sel_hi:[0,1,1]
	flat_store_b16 v[4:5], v6
	s_branch .LBB189_2
.LBB189_5:
	s_endpgm
	.section	.rodata,"a",@progbits
	.p2align	6, 0x0
	.amdhsa_kernel _ZL19rocblas_axpy_kernelIlLi256EfDF16_PKPKDF16_PKPDF16_EviT2_lT3_lT_lT4_lS9_li
		.amdhsa_group_segment_fixed_size 0
		.amdhsa_private_segment_fixed_size 0
		.amdhsa_kernarg_size 84
		.amdhsa_user_sgpr_count 2
		.amdhsa_user_sgpr_dispatch_ptr 0
		.amdhsa_user_sgpr_queue_ptr 0
		.amdhsa_user_sgpr_kernarg_segment_ptr 1
		.amdhsa_user_sgpr_dispatch_id 0
		.amdhsa_user_sgpr_kernarg_preload_length 0
		.amdhsa_user_sgpr_kernarg_preload_offset 0
		.amdhsa_user_sgpr_private_segment_size 0
		.amdhsa_wavefront_size32 1
		.amdhsa_uses_dynamic_stack 0
		.amdhsa_enable_private_segment 0
		.amdhsa_system_sgpr_workgroup_id_x 1
		.amdhsa_system_sgpr_workgroup_id_y 0
		.amdhsa_system_sgpr_workgroup_id_z 1
		.amdhsa_system_sgpr_workgroup_info 0
		.amdhsa_system_vgpr_workitem_id 0
		.amdhsa_next_free_vgpr 10
		.amdhsa_next_free_sgpr 20
		.amdhsa_named_barrier_count 0
		.amdhsa_reserve_vcc 1
		.amdhsa_float_round_mode_32 0
		.amdhsa_float_round_mode_16_64 0
		.amdhsa_float_denorm_mode_32 3
		.amdhsa_float_denorm_mode_16_64 3
		.amdhsa_fp16_overflow 0
		.amdhsa_memory_ordered 1
		.amdhsa_forward_progress 1
		.amdhsa_inst_pref_size 3
		.amdhsa_round_robin_scheduling 0
		.amdhsa_exception_fp_ieee_invalid_op 0
		.amdhsa_exception_fp_denorm_src 0
		.amdhsa_exception_fp_ieee_div_zero 0
		.amdhsa_exception_fp_ieee_overflow 0
		.amdhsa_exception_fp_ieee_underflow 0
		.amdhsa_exception_fp_ieee_inexact 0
		.amdhsa_exception_int_div_zero 0
	.end_amdhsa_kernel
	.section	.text._ZL19rocblas_axpy_kernelIlLi256EfDF16_PKPKDF16_PKPDF16_EviT2_lT3_lT_lT4_lS9_li,"axG",@progbits,_ZL19rocblas_axpy_kernelIlLi256EfDF16_PKPKDF16_PKPDF16_EviT2_lT3_lT_lT4_lS9_li,comdat
.Lfunc_end189:
	.size	_ZL19rocblas_axpy_kernelIlLi256EfDF16_PKPKDF16_PKPDF16_EviT2_lT3_lT_lT4_lS9_li, .Lfunc_end189-_ZL19rocblas_axpy_kernelIlLi256EfDF16_PKPKDF16_PKPDF16_EviT2_lT3_lT_lT4_lS9_li
                                        ; -- End function
	.set _ZL19rocblas_axpy_kernelIlLi256EfDF16_PKPKDF16_PKPDF16_EviT2_lT3_lT_lT4_lS9_li.num_vgpr, 10
	.set _ZL19rocblas_axpy_kernelIlLi256EfDF16_PKPKDF16_PKPDF16_EviT2_lT3_lT_lT4_lS9_li.num_agpr, 0
	.set _ZL19rocblas_axpy_kernelIlLi256EfDF16_PKPKDF16_PKPDF16_EviT2_lT3_lT_lT4_lS9_li.numbered_sgpr, 20
	.set _ZL19rocblas_axpy_kernelIlLi256EfDF16_PKPKDF16_PKPDF16_EviT2_lT3_lT_lT4_lS9_li.num_named_barrier, 0
	.set _ZL19rocblas_axpy_kernelIlLi256EfDF16_PKPKDF16_PKPDF16_EviT2_lT3_lT_lT4_lS9_li.private_seg_size, 0
	.set _ZL19rocblas_axpy_kernelIlLi256EfDF16_PKPKDF16_PKPDF16_EviT2_lT3_lT_lT4_lS9_li.uses_vcc, 1
	.set _ZL19rocblas_axpy_kernelIlLi256EfDF16_PKPKDF16_PKPDF16_EviT2_lT3_lT_lT4_lS9_li.uses_flat_scratch, 0
	.set _ZL19rocblas_axpy_kernelIlLi256EfDF16_PKPKDF16_PKPDF16_EviT2_lT3_lT_lT4_lS9_li.has_dyn_sized_stack, 0
	.set _ZL19rocblas_axpy_kernelIlLi256EfDF16_PKPKDF16_PKPDF16_EviT2_lT3_lT_lT4_lS9_li.has_recursion, 0
	.set _ZL19rocblas_axpy_kernelIlLi256EfDF16_PKPKDF16_PKPDF16_EviT2_lT3_lT_lT4_lS9_li.has_indirect_call, 0
	.section	.AMDGPU.csdata,"",@progbits
; Kernel info:
; codeLenInByte = 356
; TotalNumSgprs: 22
; NumVgprs: 10
; ScratchSize: 0
; MemoryBound: 0
; FloatMode: 240
; IeeeMode: 1
; LDSByteSize: 0 bytes/workgroup (compile time only)
; SGPRBlocks: 0
; VGPRBlocks: 0
; NumSGPRsForWavesPerEU: 22
; NumVGPRsForWavesPerEU: 10
; NamedBarCnt: 0
; Occupancy: 16
; WaveLimiterHint : 1
; COMPUTE_PGM_RSRC2:SCRATCH_EN: 0
; COMPUTE_PGM_RSRC2:USER_SGPR: 2
; COMPUTE_PGM_RSRC2:TRAP_HANDLER: 0
; COMPUTE_PGM_RSRC2:TGID_X_EN: 1
; COMPUTE_PGM_RSRC2:TGID_Y_EN: 0
; COMPUTE_PGM_RSRC2:TGID_Z_EN: 1
; COMPUTE_PGM_RSRC2:TIDIG_COMP_CNT: 0
	.section	.text._ZL26rocblas_haxpy_mod_8_kernelILi256EPKfPKPKDF16_PKPDF16_EviT0_lT1_llT2_lli,"axG",@progbits,_ZL26rocblas_haxpy_mod_8_kernelILi256EPKfPKPKDF16_PKPDF16_EviT0_lT1_llT2_lli,comdat
	.globl	_ZL26rocblas_haxpy_mod_8_kernelILi256EPKfPKPKDF16_PKPDF16_EviT0_lT1_llT2_lli ; -- Begin function _ZL26rocblas_haxpy_mod_8_kernelILi256EPKfPKPKDF16_PKPDF16_EviT0_lT1_llT2_lli
	.p2align	8
	.type	_ZL26rocblas_haxpy_mod_8_kernelILi256EPKfPKPKDF16_PKPDF16_EviT0_lT1_llT2_lli,@function
_ZL26rocblas_haxpy_mod_8_kernelILi256EPKfPKPKDF16_PKPDF16_EviT0_lT1_llT2_lli: ; @_ZL26rocblas_haxpy_mod_8_kernelILi256EPKfPKPKDF16_PKPDF16_EviT0_lT1_llT2_lli
; %bb.0:
	s_load_b32 s14, s[0:1], 0x48
	s_bfe_u32 s2, ttmp6, 0x40014
	s_lshr_b32 s3, ttmp7, 16
	s_add_co_i32 s2, s2, 1
	s_bfe_u32 s4, ttmp6, 0x40008
	s_mul_i32 s2, s3, s2
	s_getreg_b32 s15, hwreg(HW_REG_IB_STS2, 6, 4)
	s_add_co_i32 s4, s4, s2
	s_cmp_eq_u32 s15, 0
	s_mov_b32 s13, 0
	s_cselect_b32 s12, s3, s4
	s_wait_kmcnt 0x0
	s_cmp_ge_u32 s12, s14
	s_cbranch_scc1 .LBB190_5
; %bb.1:
	s_clause 0x1
	s_load_b32 s16, s[0:1], 0x0
	s_load_b256 s[4:11], s[0:1], 0x8
	s_bfe_u32 s17, ttmp6, 0x4000c
	s_wait_xcnt 0x0
	s_load_b128 s[0:3], s[0:1], 0x30
	s_add_co_i32 s17, s17, 1
	s_and_b32 s18, ttmp6, 15
	s_mul_i32 s17, ttmp9, s17
	v_mov_b32_e32 v1, 0
	s_add_co_i32 s18, s18, s17
	s_wait_kmcnt 0x0
	s_ashr_i32 s17, s16, 31
	s_cmp_eq_u32 s15, 0
	s_cselect_b32 s15, ttmp9, s18
	s_lshl_b64 s[10:11], s[10:11], 1
	v_lshl_or_b32 v0, s15, 8, v0
	s_lshl_b64 s[2:3], s[2:3], 1
	s_delay_alu instid0(VALU_DEP_1)
	v_cmp_gt_i64_e32 vcc_lo, s[16:17], v[0:1]
	v_lshlrev_b64_e32 v[0:1], 1, v[0:1]
	s_branch .LBB190_3
.LBB190_2:                              ;   in Loop: Header=BB190_3 Depth=1
	s_wait_xcnt 0x0
	s_or_b32 exec_lo, exec_lo, s16
	s_add_co_i32 s12, s12, 0x10000
	s_delay_alu instid0(SALU_CYCLE_1)
	s_cmp_lt_u32 s12, s14
	s_cbranch_scc0 .LBB190_5
.LBB190_3:                              ; =>This Inner Loop Header: Depth=1
	s_mul_u64 s[16:17], s[6:7], s[12:13]
	s_delay_alu instid0(SALU_CYCLE_1) | instskip(NEXT) | instid1(SALU_CYCLE_1)
	s_lshl_b64 s[16:17], s[16:17], 2
	s_add_nc_u64 s[16:17], s[4:5], s[16:17]
	s_load_b32 s15, s[16:17], 0x0
	s_wait_kmcnt 0x0
	s_cmp_neq_f32 s15, 0
	s_wait_xcnt 0x0
	s_cselect_b32 s16, -1, 0
	s_delay_alu instid0(SALU_CYCLE_1) | instskip(NEXT) | instid1(SALU_CYCLE_1)
	s_and_b32 s17, vcc_lo, s16
	s_and_saveexec_b32 s16, s17
	s_cbranch_execz .LBB190_2
; %bb.4:                                ;   in Loop: Header=BB190_3 Depth=1
	s_lshl_b64 s[18:19], s[12:13], 3
	s_delay_alu instid0(SALU_CYCLE_1)
	s_add_nc_u64 s[20:21], s[8:9], s[18:19]
	s_add_nc_u64 s[18:19], s[0:1], s[18:19]
	s_load_b64 s[22:23], s[20:21], 0x0
	s_load_b64 s[24:25], s[18:19], 0x0
	s_wait_kmcnt 0x0
	s_wait_xcnt 0x0
	s_add_nc_u64 s[18:19], s[22:23], s[10:11]
	s_add_nc_u64 s[20:21], s[24:25], s[2:3]
	v_add_nc_u64_e32 v[2:3], s[18:19], v[0:1]
	v_add_nc_u64_e32 v[4:5], s[20:21], v[0:1]
	flat_load_u16 v6, v[2:3]
	flat_load_u16 v7, v[4:5]
	s_wait_loadcnt_dscnt 0x0
	s_wait_xcnt 0x1
	v_fma_mixlo_f16 v2, s15, v6, v7 op_sel_hi:[0,1,1]
	flat_store_b16 v[4:5], v2
	s_branch .LBB190_2
.LBB190_5:
	s_endpgm
	.section	.rodata,"a",@progbits
	.p2align	6, 0x0
	.amdhsa_kernel _ZL26rocblas_haxpy_mod_8_kernelILi256EPKfPKPKDF16_PKPDF16_EviT0_lT1_llT2_lli
		.amdhsa_group_segment_fixed_size 0
		.amdhsa_private_segment_fixed_size 0
		.amdhsa_kernarg_size 76
		.amdhsa_user_sgpr_count 2
		.amdhsa_user_sgpr_dispatch_ptr 0
		.amdhsa_user_sgpr_queue_ptr 0
		.amdhsa_user_sgpr_kernarg_segment_ptr 1
		.amdhsa_user_sgpr_dispatch_id 0
		.amdhsa_user_sgpr_kernarg_preload_length 0
		.amdhsa_user_sgpr_kernarg_preload_offset 0
		.amdhsa_user_sgpr_private_segment_size 0
		.amdhsa_wavefront_size32 1
		.amdhsa_uses_dynamic_stack 0
		.amdhsa_enable_private_segment 0
		.amdhsa_system_sgpr_workgroup_id_x 1
		.amdhsa_system_sgpr_workgroup_id_y 0
		.amdhsa_system_sgpr_workgroup_id_z 1
		.amdhsa_system_sgpr_workgroup_info 0
		.amdhsa_system_vgpr_workitem_id 0
		.amdhsa_next_free_vgpr 8
		.amdhsa_next_free_sgpr 26
		.amdhsa_named_barrier_count 0
		.amdhsa_reserve_vcc 1
		.amdhsa_float_round_mode_32 0
		.amdhsa_float_round_mode_16_64 0
		.amdhsa_float_denorm_mode_32 3
		.amdhsa_float_denorm_mode_16_64 3
		.amdhsa_fp16_overflow 0
		.amdhsa_memory_ordered 1
		.amdhsa_forward_progress 1
		.amdhsa_inst_pref_size 3
		.amdhsa_round_robin_scheduling 0
		.amdhsa_exception_fp_ieee_invalid_op 0
		.amdhsa_exception_fp_denorm_src 0
		.amdhsa_exception_fp_ieee_div_zero 0
		.amdhsa_exception_fp_ieee_overflow 0
		.amdhsa_exception_fp_ieee_underflow 0
		.amdhsa_exception_fp_ieee_inexact 0
		.amdhsa_exception_int_div_zero 0
	.end_amdhsa_kernel
	.section	.text._ZL26rocblas_haxpy_mod_8_kernelILi256EPKfPKPKDF16_PKPDF16_EviT0_lT1_llT2_lli,"axG",@progbits,_ZL26rocblas_haxpy_mod_8_kernelILi256EPKfPKPKDF16_PKPDF16_EviT0_lT1_llT2_lli,comdat
.Lfunc_end190:
	.size	_ZL26rocblas_haxpy_mod_8_kernelILi256EPKfPKPKDF16_PKPDF16_EviT0_lT1_llT2_lli, .Lfunc_end190-_ZL26rocblas_haxpy_mod_8_kernelILi256EPKfPKPKDF16_PKPDF16_EviT0_lT1_llT2_lli
                                        ; -- End function
	.set _ZL26rocblas_haxpy_mod_8_kernelILi256EPKfPKPKDF16_PKPDF16_EviT0_lT1_llT2_lli.num_vgpr, 8
	.set _ZL26rocblas_haxpy_mod_8_kernelILi256EPKfPKPKDF16_PKPDF16_EviT0_lT1_llT2_lli.num_agpr, 0
	.set _ZL26rocblas_haxpy_mod_8_kernelILi256EPKfPKPKDF16_PKPDF16_EviT0_lT1_llT2_lli.numbered_sgpr, 26
	.set _ZL26rocblas_haxpy_mod_8_kernelILi256EPKfPKPKDF16_PKPDF16_EviT0_lT1_llT2_lli.num_named_barrier, 0
	.set _ZL26rocblas_haxpy_mod_8_kernelILi256EPKfPKPKDF16_PKPDF16_EviT0_lT1_llT2_lli.private_seg_size, 0
	.set _ZL26rocblas_haxpy_mod_8_kernelILi256EPKfPKPKDF16_PKPDF16_EviT0_lT1_llT2_lli.uses_vcc, 1
	.set _ZL26rocblas_haxpy_mod_8_kernelILi256EPKfPKPKDF16_PKPDF16_EviT0_lT1_llT2_lli.uses_flat_scratch, 0
	.set _ZL26rocblas_haxpy_mod_8_kernelILi256EPKfPKPKDF16_PKPDF16_EviT0_lT1_llT2_lli.has_dyn_sized_stack, 0
	.set _ZL26rocblas_haxpy_mod_8_kernelILi256EPKfPKPKDF16_PKPDF16_EviT0_lT1_llT2_lli.has_recursion, 0
	.set _ZL26rocblas_haxpy_mod_8_kernelILi256EPKfPKPKDF16_PKPDF16_EviT0_lT1_llT2_lli.has_indirect_call, 0
	.section	.AMDGPU.csdata,"",@progbits
; Kernel info:
; codeLenInByte = 376
; TotalNumSgprs: 28
; NumVgprs: 8
; ScratchSize: 0
; MemoryBound: 0
; FloatMode: 240
; IeeeMode: 1
; LDSByteSize: 0 bytes/workgroup (compile time only)
; SGPRBlocks: 0
; VGPRBlocks: 0
; NumSGPRsForWavesPerEU: 28
; NumVGPRsForWavesPerEU: 8
; NamedBarCnt: 0
; Occupancy: 16
; WaveLimiterHint : 1
; COMPUTE_PGM_RSRC2:SCRATCH_EN: 0
; COMPUTE_PGM_RSRC2:USER_SGPR: 2
; COMPUTE_PGM_RSRC2:TRAP_HANDLER: 0
; COMPUTE_PGM_RSRC2:TGID_X_EN: 1
; COMPUTE_PGM_RSRC2:TGID_Y_EN: 0
; COMPUTE_PGM_RSRC2:TGID_Z_EN: 1
; COMPUTE_PGM_RSRC2:TIDIG_COMP_CNT: 0
	.section	.text._ZL26rocblas_haxpy_mod_8_kernelILi256EfPKPKDF16_PKPDF16_EviT0_lT1_llT2_lli,"axG",@progbits,_ZL26rocblas_haxpy_mod_8_kernelILi256EfPKPKDF16_PKPDF16_EviT0_lT1_llT2_lli,comdat
	.globl	_ZL26rocblas_haxpy_mod_8_kernelILi256EfPKPKDF16_PKPDF16_EviT0_lT1_llT2_lli ; -- Begin function _ZL26rocblas_haxpy_mod_8_kernelILi256EfPKPKDF16_PKPDF16_EviT0_lT1_llT2_lli
	.p2align	8
	.type	_ZL26rocblas_haxpy_mod_8_kernelILi256EfPKPKDF16_PKPDF16_EviT0_lT1_llT2_lli,@function
_ZL26rocblas_haxpy_mod_8_kernelILi256EfPKPKDF16_PKPDF16_EviT0_lT1_llT2_lli: ; @_ZL26rocblas_haxpy_mod_8_kernelILi256EfPKPKDF16_PKPDF16_EviT0_lT1_llT2_lli
; %bb.0:
	s_load_b32 s12, s[0:1], 0x40
	s_bfe_u32 s2, ttmp6, 0x40014
	s_lshr_b32 s3, ttmp7, 16
	s_add_co_i32 s2, s2, 1
	s_bfe_u32 s4, ttmp6, 0x40008
	s_mul_i32 s2, s3, s2
	s_getreg_b32 s14, hwreg(HW_REG_IB_STS2, 6, 4)
	s_add_co_i32 s4, s4, s2
	s_cmp_eq_u32 s14, 0
	s_cselect_b32 s13, s3, s4
	s_wait_kmcnt 0x0
	s_cmp_ge_u32 s13, s12
	s_cbranch_scc1 .LBB191_5
; %bb.1:
	s_clause 0x1
	s_load_b64 s[2:3], s[0:1], 0x0
	s_load_b128 s[4:7], s[0:1], 0x10
	s_bfe_u32 s8, ttmp6, 0x4000c
	s_and_b32 s15, ttmp6, 15
	s_add_co_i32 s8, s8, 1
	v_mov_b32_e32 v1, 0
	s_mul_i32 s16, ttmp9, s8
	s_load_b128 s[8:11], s[0:1], 0x28
	s_add_co_i32 s15, s15, s16
	s_cmp_eq_u32 s14, 0
	s_wait_xcnt 0x0
	s_cselect_b32 s0, ttmp9, s15
	s_delay_alu instid0(SALU_CYCLE_1)
	v_lshl_or_b32 v0, s0, 8, v0
	s_wait_kmcnt 0x0
	s_cmp_neq_f32 s3, 0
	s_mov_b32 s0, s2
	s_cselect_b32 s14, -1, 0
	s_ashr_i32 s1, s2, 31
	s_delay_alu instid0(SALU_CYCLE_1)
	v_cmp_gt_i64_e32 vcc_lo, s[0:1], v[0:1]
	v_lshlrev_b64_e32 v[0:1], 1, v[0:1]
	s_lshl_b64 s[0:1], s[6:7], 1
	s_lshl_b64 s[6:7], s[10:11], 1
	s_and_b32 s2, s14, vcc_lo
	s_branch .LBB191_3
.LBB191_2:                              ;   in Loop: Header=BB191_3 Depth=1
	s_wait_xcnt 0x0
	s_or_b32 exec_lo, exec_lo, s10
	s_add_co_i32 s13, s13, 0x10000
	s_delay_alu instid0(SALU_CYCLE_1)
	s_cmp_lt_u32 s13, s12
	s_cbranch_scc0 .LBB191_5
.LBB191_3:                              ; =>This Inner Loop Header: Depth=1
	s_and_saveexec_b32 s10, s2
	s_cbranch_execz .LBB191_2
; %bb.4:                                ;   in Loop: Header=BB191_3 Depth=1
	s_load_b64 s[14:15], s[4:5], s13 offset:0x0 scale_offset
	s_load_b64 s[16:17], s[8:9], s13 offset:0x0 scale_offset
	s_wait_kmcnt 0x0
	s_add_nc_u64 s[14:15], s[14:15], s[0:1]
	s_add_nc_u64 s[16:17], s[16:17], s[6:7]
	v_add_nc_u64_e32 v[2:3], s[14:15], v[0:1]
	v_add_nc_u64_e32 v[4:5], s[16:17], v[0:1]
	flat_load_u16 v6, v[2:3]
	flat_load_u16 v7, v[4:5]
	s_wait_loadcnt_dscnt 0x0
	s_wait_xcnt 0x1
	v_fma_mixlo_f16 v2, s3, v6, v7 op_sel_hi:[0,1,1]
	flat_store_b16 v[4:5], v2
	s_branch .LBB191_2
.LBB191_5:
	s_endpgm
	.section	.rodata,"a",@progbits
	.p2align	6, 0x0
	.amdhsa_kernel _ZL26rocblas_haxpy_mod_8_kernelILi256EfPKPKDF16_PKPDF16_EviT0_lT1_llT2_lli
		.amdhsa_group_segment_fixed_size 0
		.amdhsa_private_segment_fixed_size 0
		.amdhsa_kernarg_size 68
		.amdhsa_user_sgpr_count 2
		.amdhsa_user_sgpr_dispatch_ptr 0
		.amdhsa_user_sgpr_queue_ptr 0
		.amdhsa_user_sgpr_kernarg_segment_ptr 1
		.amdhsa_user_sgpr_dispatch_id 0
		.amdhsa_user_sgpr_kernarg_preload_length 0
		.amdhsa_user_sgpr_kernarg_preload_offset 0
		.amdhsa_user_sgpr_private_segment_size 0
		.amdhsa_wavefront_size32 1
		.amdhsa_uses_dynamic_stack 0
		.amdhsa_enable_private_segment 0
		.amdhsa_system_sgpr_workgroup_id_x 1
		.amdhsa_system_sgpr_workgroup_id_y 0
		.amdhsa_system_sgpr_workgroup_id_z 1
		.amdhsa_system_sgpr_workgroup_info 0
		.amdhsa_system_vgpr_workitem_id 0
		.amdhsa_next_free_vgpr 8
		.amdhsa_next_free_sgpr 18
		.amdhsa_named_barrier_count 0
		.amdhsa_reserve_vcc 1
		.amdhsa_float_round_mode_32 0
		.amdhsa_float_round_mode_16_64 0
		.amdhsa_float_denorm_mode_32 3
		.amdhsa_float_denorm_mode_16_64 3
		.amdhsa_fp16_overflow 0
		.amdhsa_memory_ordered 1
		.amdhsa_forward_progress 1
		.amdhsa_inst_pref_size 3
		.amdhsa_round_robin_scheduling 0
		.amdhsa_exception_fp_ieee_invalid_op 0
		.amdhsa_exception_fp_denorm_src 0
		.amdhsa_exception_fp_ieee_div_zero 0
		.amdhsa_exception_fp_ieee_overflow 0
		.amdhsa_exception_fp_ieee_underflow 0
		.amdhsa_exception_fp_ieee_inexact 0
		.amdhsa_exception_int_div_zero 0
	.end_amdhsa_kernel
	.section	.text._ZL26rocblas_haxpy_mod_8_kernelILi256EfPKPKDF16_PKPDF16_EviT0_lT1_llT2_lli,"axG",@progbits,_ZL26rocblas_haxpy_mod_8_kernelILi256EfPKPKDF16_PKPDF16_EviT0_lT1_llT2_lli,comdat
.Lfunc_end191:
	.size	_ZL26rocblas_haxpy_mod_8_kernelILi256EfPKPKDF16_PKPDF16_EviT0_lT1_llT2_lli, .Lfunc_end191-_ZL26rocblas_haxpy_mod_8_kernelILi256EfPKPKDF16_PKPDF16_EviT0_lT1_llT2_lli
                                        ; -- End function
	.set _ZL26rocblas_haxpy_mod_8_kernelILi256EfPKPKDF16_PKPDF16_EviT0_lT1_llT2_lli.num_vgpr, 8
	.set _ZL26rocblas_haxpy_mod_8_kernelILi256EfPKPKDF16_PKPDF16_EviT0_lT1_llT2_lli.num_agpr, 0
	.set _ZL26rocblas_haxpy_mod_8_kernelILi256EfPKPKDF16_PKPDF16_EviT0_lT1_llT2_lli.numbered_sgpr, 18
	.set _ZL26rocblas_haxpy_mod_8_kernelILi256EfPKPKDF16_PKPDF16_EviT0_lT1_llT2_lli.num_named_barrier, 0
	.set _ZL26rocblas_haxpy_mod_8_kernelILi256EfPKPKDF16_PKPDF16_EviT0_lT1_llT2_lli.private_seg_size, 0
	.set _ZL26rocblas_haxpy_mod_8_kernelILi256EfPKPKDF16_PKPDF16_EviT0_lT1_llT2_lli.uses_vcc, 1
	.set _ZL26rocblas_haxpy_mod_8_kernelILi256EfPKPKDF16_PKPDF16_EviT0_lT1_llT2_lli.uses_flat_scratch, 0
	.set _ZL26rocblas_haxpy_mod_8_kernelILi256EfPKPKDF16_PKPDF16_EviT0_lT1_llT2_lli.has_dyn_sized_stack, 0
	.set _ZL26rocblas_haxpy_mod_8_kernelILi256EfPKPKDF16_PKPDF16_EviT0_lT1_llT2_lli.has_recursion, 0
	.set _ZL26rocblas_haxpy_mod_8_kernelILi256EfPKPKDF16_PKPDF16_EviT0_lT1_llT2_lli.has_indirect_call, 0
	.section	.AMDGPU.csdata,"",@progbits
; Kernel info:
; codeLenInByte = 324
; TotalNumSgprs: 20
; NumVgprs: 8
; ScratchSize: 0
; MemoryBound: 0
; FloatMode: 240
; IeeeMode: 1
; LDSByteSize: 0 bytes/workgroup (compile time only)
; SGPRBlocks: 0
; VGPRBlocks: 0
; NumSGPRsForWavesPerEU: 20
; NumVGPRsForWavesPerEU: 8
; NamedBarCnt: 0
; Occupancy: 16
; WaveLimiterHint : 1
; COMPUTE_PGM_RSRC2:SCRATCH_EN: 0
; COMPUTE_PGM_RSRC2:USER_SGPR: 2
; COMPUTE_PGM_RSRC2:TRAP_HANDLER: 0
; COMPUTE_PGM_RSRC2:TGID_X_EN: 1
; COMPUTE_PGM_RSRC2:TGID_Y_EN: 0
; COMPUTE_PGM_RSRC2:TGID_Z_EN: 1
; COMPUTE_PGM_RSRC2:TIDIG_COMP_CNT: 0
	.section	.text._ZL22rocblas_saxpy_2_kernelILi256EfPKfPKPKDF16_PKPDF16_EviT1_lT2_llT3_lli,"axG",@progbits,_ZL22rocblas_saxpy_2_kernelILi256EfPKfPKPKDF16_PKPDF16_EviT1_lT2_llT3_lli,comdat
	.globl	_ZL22rocblas_saxpy_2_kernelILi256EfPKfPKPKDF16_PKPDF16_EviT1_lT2_llT3_lli ; -- Begin function _ZL22rocblas_saxpy_2_kernelILi256EfPKfPKPKDF16_PKPDF16_EviT1_lT2_llT3_lli
	.p2align	8
	.type	_ZL22rocblas_saxpy_2_kernelILi256EfPKfPKPKDF16_PKPDF16_EviT1_lT2_llT3_lli,@function
_ZL22rocblas_saxpy_2_kernelILi256EfPKfPKPKDF16_PKPDF16_EviT1_lT2_llT3_lli: ; @_ZL22rocblas_saxpy_2_kernelILi256EfPKfPKPKDF16_PKPDF16_EviT1_lT2_llT3_lli
; %bb.0:
	s_load_b32 s16, s[0:1], 0x48
	s_bfe_u32 s2, ttmp6, 0x40014
	s_lshr_b32 s3, ttmp7, 16
	s_add_co_i32 s2, s2, 1
	s_bfe_u32 s4, ttmp6, 0x40008
	s_mul_i32 s2, s3, s2
	s_getreg_b32 s17, hwreg(HW_REG_IB_STS2, 6, 4)
	s_add_co_i32 s4, s4, s2
	s_cmp_eq_u32 s17, 0
	s_cselect_b32 s2, s3, s4
	s_mov_b32 s3, 0
	s_wait_kmcnt 0x0
	s_cmp_ge_u32 s2, s16
	s_cbranch_scc1 .LBB192_9
; %bb.1:
	s_clause 0x1
	s_load_b32 s20, s[0:1], 0x0
	s_load_b256 s[4:11], s[0:1], 0x8
	s_bfe_u32 s18, ttmp6, 0x4000c
	s_load_b128 s[12:15], s[0:1], 0x30
	s_add_co_i32 s18, s18, 1
	s_wait_xcnt 0x0
	s_and_b32 s0, ttmp6, 15
	s_mul_i32 s1, ttmp9, s18
	v_dual_mov_b32 v3, 0 :: v_dual_lshlrev_b32 v0, 1, v0
	s_add_co_i32 s0, s0, s1
	s_cmp_eq_u32 s17, 0
	s_cselect_b32 s0, ttmp9, s0
	s_delay_alu instid0(VALU_DEP_1) | instid1(SALU_CYCLE_1)
	v_lshl_or_b32 v2, s0, 9, v0
	s_delay_alu instid0(VALU_DEP_1) | instskip(SKIP_2) | instid1(SALU_CYCLE_1)
	v_lshlrev_b64_e32 v[0:1], 1, v[2:3]
	s_wait_kmcnt 0x0
	s_add_co_i32 s18, s20, -1
	s_ashr_i32 s19, s18, 31
	s_bitcmp1_b32 s20, 0
	v_cmp_eq_u64_e64 s0, s[18:19], v[2:3]
	s_cselect_b32 s1, -1, 0
	s_lshl_b64 s[10:11], s[10:11], 1
	v_cmp_gt_i64_e32 vcc_lo, s[18:19], v[2:3]
	s_and_b32 s17, s1, s0
	s_lshl_b64 s[0:1], s[14:15], 1
	s_branch .LBB192_4
.LBB192_2:                              ;   in Loop: Header=BB192_4 Depth=1
	s_wait_xcnt 0x0
	s_or_b32 exec_lo, exec_lo, s15
.LBB192_3:                              ;   in Loop: Header=BB192_4 Depth=1
	s_add_co_i32 s2, s2, 0x10000
	s_delay_alu instid0(SALU_CYCLE_1)
	s_cmp_lt_u32 s2, s16
	s_cbranch_scc0 .LBB192_9
.LBB192_4:                              ; =>This Inner Loop Header: Depth=1
	s_wait_xcnt 0x0
	s_mul_u64 s[14:15], s[6:7], s[2:3]
	s_delay_alu instid0(SALU_CYCLE_1) | instskip(NEXT) | instid1(SALU_CYCLE_1)
	s_lshl_b64 s[14:15], s[14:15], 2
	s_add_nc_u64 s[14:15], s[4:5], s[14:15]
	s_load_b32 s14, s[14:15], 0x0
	s_wait_kmcnt 0x0
	s_cmp_eq_f32 s14, 0
	s_cbranch_scc1 .LBB192_3
; %bb.5:                                ;   in Loop: Header=BB192_4 Depth=1
	s_lshl_b64 s[18:19], s[2:3], 3
	s_delay_alu instid0(SALU_CYCLE_1)
	s_add_nc_u64 s[20:21], s[12:13], s[18:19]
	s_add_nc_u64 s[18:19], s[8:9], s[18:19]
	s_load_b64 s[22:23], s[20:21], 0x0
	s_load_b64 s[24:25], s[18:19], 0x0
	s_wait_kmcnt 0x0
	s_wait_xcnt 0x0
	s_add_nc_u64 s[18:19], s[22:23], s[0:1]
	s_add_nc_u64 s[20:21], s[24:25], s[10:11]
	v_add_nc_u64_e32 v[2:3], s[18:19], v[0:1]
	v_add_nc_u64_e32 v[4:5], s[20:21], v[0:1]
	s_and_saveexec_b32 s15, vcc_lo
	s_cbranch_execz .LBB192_7
; %bb.6:                                ;   in Loop: Header=BB192_4 Depth=1
	flat_load_b32 v6, v[2:3]
	flat_load_u16 v7, v[4:5]
	s_wait_loadcnt_dscnt 0x0
	v_fma_mixlo_f16 v7, s14, v7, v6 op_sel_hi:[0,1,1]
	flat_store_b16 v[2:3], v7
	flat_load_u16 v7, v[4:5] offset:2
	s_wait_loadcnt_dscnt 0x0
	v_fma_mixlo_f16 v6, s14, v7, v6 op_sel:[0,0,1] op_sel_hi:[0,1,1]
	flat_store_b16 v[2:3], v6 offset:2
.LBB192_7:                              ;   in Loop: Header=BB192_4 Depth=1
	s_wait_xcnt 0x0
	s_or_b32 exec_lo, exec_lo, s15
	s_and_saveexec_b32 s15, s17
	s_cbranch_execz .LBB192_2
; %bb.8:                                ;   in Loop: Header=BB192_4 Depth=1
	flat_load_u16 v6, v[2:3]
	flat_load_u16 v7, v[4:5]
	s_wait_loadcnt_dscnt 0x0
	v_fma_mixlo_f16 v4, s14, v7, v6 op_sel_hi:[0,1,1]
	flat_store_b16 v[2:3], v4
	s_branch .LBB192_2
.LBB192_9:
	s_endpgm
	.section	.rodata,"a",@progbits
	.p2align	6, 0x0
	.amdhsa_kernel _ZL22rocblas_saxpy_2_kernelILi256EfPKfPKPKDF16_PKPDF16_EviT1_lT2_llT3_lli
		.amdhsa_group_segment_fixed_size 0
		.amdhsa_private_segment_fixed_size 0
		.amdhsa_kernarg_size 76
		.amdhsa_user_sgpr_count 2
		.amdhsa_user_sgpr_dispatch_ptr 0
		.amdhsa_user_sgpr_queue_ptr 0
		.amdhsa_user_sgpr_kernarg_segment_ptr 1
		.amdhsa_user_sgpr_dispatch_id 0
		.amdhsa_user_sgpr_kernarg_preload_length 0
		.amdhsa_user_sgpr_kernarg_preload_offset 0
		.amdhsa_user_sgpr_private_segment_size 0
		.amdhsa_wavefront_size32 1
		.amdhsa_uses_dynamic_stack 0
		.amdhsa_enable_private_segment 0
		.amdhsa_system_sgpr_workgroup_id_x 1
		.amdhsa_system_sgpr_workgroup_id_y 0
		.amdhsa_system_sgpr_workgroup_id_z 1
		.amdhsa_system_sgpr_workgroup_info 0
		.amdhsa_system_vgpr_workitem_id 0
		.amdhsa_next_free_vgpr 8
		.amdhsa_next_free_sgpr 26
		.amdhsa_named_barrier_count 0
		.amdhsa_reserve_vcc 1
		.amdhsa_float_round_mode_32 0
		.amdhsa_float_round_mode_16_64 0
		.amdhsa_float_denorm_mode_32 3
		.amdhsa_float_denorm_mode_16_64 3
		.amdhsa_fp16_overflow 0
		.amdhsa_memory_ordered 1
		.amdhsa_forward_progress 1
		.amdhsa_inst_pref_size 4
		.amdhsa_round_robin_scheduling 0
		.amdhsa_exception_fp_ieee_invalid_op 0
		.amdhsa_exception_fp_denorm_src 0
		.amdhsa_exception_fp_ieee_div_zero 0
		.amdhsa_exception_fp_ieee_overflow 0
		.amdhsa_exception_fp_ieee_underflow 0
		.amdhsa_exception_fp_ieee_inexact 0
		.amdhsa_exception_int_div_zero 0
	.end_amdhsa_kernel
	.section	.text._ZL22rocblas_saxpy_2_kernelILi256EfPKfPKPKDF16_PKPDF16_EviT1_lT2_llT3_lli,"axG",@progbits,_ZL22rocblas_saxpy_2_kernelILi256EfPKfPKPKDF16_PKPDF16_EviT1_lT2_llT3_lli,comdat
.Lfunc_end192:
	.size	_ZL22rocblas_saxpy_2_kernelILi256EfPKfPKPKDF16_PKPDF16_EviT1_lT2_llT3_lli, .Lfunc_end192-_ZL22rocblas_saxpy_2_kernelILi256EfPKfPKPKDF16_PKPDF16_EviT1_lT2_llT3_lli
                                        ; -- End function
	.set _ZL22rocblas_saxpy_2_kernelILi256EfPKfPKPKDF16_PKPDF16_EviT1_lT2_llT3_lli.num_vgpr, 8
	.set _ZL22rocblas_saxpy_2_kernelILi256EfPKfPKPKDF16_PKPDF16_EviT1_lT2_llT3_lli.num_agpr, 0
	.set _ZL22rocblas_saxpy_2_kernelILi256EfPKfPKPKDF16_PKPDF16_EviT1_lT2_llT3_lli.numbered_sgpr, 26
	.set _ZL22rocblas_saxpy_2_kernelILi256EfPKfPKPKDF16_PKPDF16_EviT1_lT2_llT3_lli.num_named_barrier, 0
	.set _ZL22rocblas_saxpy_2_kernelILi256EfPKfPKPKDF16_PKPDF16_EviT1_lT2_llT3_lli.private_seg_size, 0
	.set _ZL22rocblas_saxpy_2_kernelILi256EfPKfPKPKDF16_PKPDF16_EviT1_lT2_llT3_lli.uses_vcc, 1
	.set _ZL22rocblas_saxpy_2_kernelILi256EfPKfPKPKDF16_PKPDF16_EviT1_lT2_llT3_lli.uses_flat_scratch, 0
	.set _ZL22rocblas_saxpy_2_kernelILi256EfPKfPKPKDF16_PKPDF16_EviT1_lT2_llT3_lli.has_dyn_sized_stack, 0
	.set _ZL22rocblas_saxpy_2_kernelILi256EfPKfPKPKDF16_PKPDF16_EviT1_lT2_llT3_lli.has_recursion, 0
	.set _ZL22rocblas_saxpy_2_kernelILi256EfPKfPKPKDF16_PKPDF16_EviT1_lT2_llT3_lli.has_indirect_call, 0
	.section	.AMDGPU.csdata,"",@progbits
; Kernel info:
; codeLenInByte = 496
; TotalNumSgprs: 28
; NumVgprs: 8
; ScratchSize: 0
; MemoryBound: 0
; FloatMode: 240
; IeeeMode: 1
; LDSByteSize: 0 bytes/workgroup (compile time only)
; SGPRBlocks: 0
; VGPRBlocks: 0
; NumSGPRsForWavesPerEU: 28
; NumVGPRsForWavesPerEU: 8
; NamedBarCnt: 0
; Occupancy: 16
; WaveLimiterHint : 1
; COMPUTE_PGM_RSRC2:SCRATCH_EN: 0
; COMPUTE_PGM_RSRC2:USER_SGPR: 2
; COMPUTE_PGM_RSRC2:TRAP_HANDLER: 0
; COMPUTE_PGM_RSRC2:TGID_X_EN: 1
; COMPUTE_PGM_RSRC2:TGID_Y_EN: 0
; COMPUTE_PGM_RSRC2:TGID_Z_EN: 1
; COMPUTE_PGM_RSRC2:TIDIG_COMP_CNT: 0
	.section	.text._ZL22rocblas_saxpy_2_kernelILi256EffPKPKDF16_PKPDF16_EviT1_lT2_llT3_lli,"axG",@progbits,_ZL22rocblas_saxpy_2_kernelILi256EffPKPKDF16_PKPDF16_EviT1_lT2_llT3_lli,comdat
	.globl	_ZL22rocblas_saxpy_2_kernelILi256EffPKPKDF16_PKPDF16_EviT1_lT2_llT3_lli ; -- Begin function _ZL22rocblas_saxpy_2_kernelILi256EffPKPKDF16_PKPDF16_EviT1_lT2_llT3_lli
	.p2align	8
	.type	_ZL22rocblas_saxpy_2_kernelILi256EffPKPKDF16_PKPDF16_EviT1_lT2_llT3_lli,@function
_ZL22rocblas_saxpy_2_kernelILi256EffPKPKDF16_PKPDF16_EviT1_lT2_llT3_lli: ; @_ZL22rocblas_saxpy_2_kernelILi256EffPKPKDF16_PKPDF16_EviT1_lT2_llT3_lli
; %bb.0:
	s_load_b32 s12, s[0:1], 0x40
	s_bfe_u32 s2, ttmp6, 0x40014
	s_lshr_b32 s3, ttmp7, 16
	s_add_co_i32 s2, s2, 1
	s_bfe_u32 s4, ttmp6, 0x40008
	s_mul_i32 s2, s3, s2
	s_getreg_b32 s14, hwreg(HW_REG_IB_STS2, 6, 4)
	s_add_co_i32 s4, s4, s2
	s_cmp_eq_u32 s14, 0
	s_cselect_b32 s13, s3, s4
	s_wait_kmcnt 0x0
	s_cmp_ge_u32 s13, s12
	s_cbranch_scc1 .LBB193_9
; %bb.1:
	s_clause 0x1
	s_load_b64 s[2:3], s[0:1], 0x0
	s_load_b128 s[4:7], s[0:1], 0x10
	s_bfe_u32 s8, ttmp6, 0x4000c
	s_and_b32 s15, ttmp6, 15
	s_add_co_i32 s8, s8, 1
	v_dual_mov_b32 v3, 0 :: v_dual_lshlrev_b32 v0, 1, v0
	s_mul_i32 s16, ttmp9, s8
	s_load_b128 s[8:11], s[0:1], 0x28
	s_add_co_i32 s15, s15, s16
	s_cmp_eq_u32 s14, 0
	s_wait_xcnt 0x0
	s_cselect_b32 s0, ttmp9, s15
	s_delay_alu instid0(SALU_CYCLE_1) | instskip(NEXT) | instid1(VALU_DEP_1)
	v_lshl_or_b32 v2, s0, 9, v0
	v_lshlrev_b64_e32 v[0:1], 1, v[2:3]
	s_wait_kmcnt 0x0
	s_cmp_neq_f32 s3, 0
	s_cselect_b32 s1, -1, 0
	s_add_co_i32 s14, s2, -1
	s_delay_alu instid0(SALU_CYCLE_1)
	s_ashr_i32 s15, s14, 31
	s_bitcmp1_b32 s2, 0
	v_cmp_eq_u64_e32 vcc_lo, s[14:15], v[2:3]
	v_cmp_gt_i64_e64 s0, s[14:15], v[2:3]
	s_cselect_b32 s2, -1, 0
	s_lshl_b64 s[6:7], s[6:7], 1
	s_lshl_b64 s[10:11], s[10:11], 1
	s_and_b32 s2, s2, vcc_lo
	s_branch .LBB193_4
.LBB193_2:                              ;   in Loop: Header=BB193_4 Depth=1
	s_wait_xcnt 0x0
	s_or_b32 exec_lo, exec_lo, s14
.LBB193_3:                              ;   in Loop: Header=BB193_4 Depth=1
	s_add_co_i32 s13, s13, 0x10000
	s_delay_alu instid0(SALU_CYCLE_1)
	s_cmp_lt_u32 s13, s12
	s_cbranch_scc0 .LBB193_9
.LBB193_4:                              ; =>This Inner Loop Header: Depth=1
	s_and_not1_b32 vcc_lo, exec_lo, s1
	s_cbranch_vccnz .LBB193_3
; %bb.5:                                ;   in Loop: Header=BB193_4 Depth=1
	s_load_b64 s[14:15], s[8:9], s13 offset:0x0 scale_offset
	s_load_b64 s[16:17], s[4:5], s13 offset:0x0 scale_offset
	s_wait_kmcnt 0x0
	s_add_nc_u64 s[14:15], s[14:15], s[10:11]
	s_add_nc_u64 s[16:17], s[16:17], s[6:7]
	v_add_nc_u64_e32 v[2:3], s[14:15], v[0:1]
	v_add_nc_u64_e32 v[4:5], s[16:17], v[0:1]
	s_and_saveexec_b32 s14, s0
	s_cbranch_execz .LBB193_7
; %bb.6:                                ;   in Loop: Header=BB193_4 Depth=1
	flat_load_b32 v6, v[2:3]
	flat_load_u16 v7, v[4:5]
	s_wait_loadcnt_dscnt 0x0
	v_fma_mixlo_f16 v7, s3, v7, v6 op_sel_hi:[0,1,1]
	flat_store_b16 v[2:3], v7
	flat_load_u16 v7, v[4:5] offset:2
	s_wait_loadcnt_dscnt 0x0
	v_fma_mixlo_f16 v6, s3, v7, v6 op_sel:[0,0,1] op_sel_hi:[0,1,1]
	flat_store_b16 v[2:3], v6 offset:2
.LBB193_7:                              ;   in Loop: Header=BB193_4 Depth=1
	s_wait_xcnt 0x0
	s_or_b32 exec_lo, exec_lo, s14
	s_and_saveexec_b32 s14, s2
	s_cbranch_execz .LBB193_2
; %bb.8:                                ;   in Loop: Header=BB193_4 Depth=1
	flat_load_u16 v6, v[2:3]
	flat_load_u16 v7, v[4:5]
	s_wait_loadcnt_dscnt 0x0
	v_fma_mixlo_f16 v4, s3, v7, v6 op_sel_hi:[0,1,1]
	flat_store_b16 v[2:3], v4
	s_branch .LBB193_2
.LBB193_9:
	s_endpgm
	.section	.rodata,"a",@progbits
	.p2align	6, 0x0
	.amdhsa_kernel _ZL22rocblas_saxpy_2_kernelILi256EffPKPKDF16_PKPDF16_EviT1_lT2_llT3_lli
		.amdhsa_group_segment_fixed_size 0
		.amdhsa_private_segment_fixed_size 0
		.amdhsa_kernarg_size 68
		.amdhsa_user_sgpr_count 2
		.amdhsa_user_sgpr_dispatch_ptr 0
		.amdhsa_user_sgpr_queue_ptr 0
		.amdhsa_user_sgpr_kernarg_segment_ptr 1
		.amdhsa_user_sgpr_dispatch_id 0
		.amdhsa_user_sgpr_kernarg_preload_length 0
		.amdhsa_user_sgpr_kernarg_preload_offset 0
		.amdhsa_user_sgpr_private_segment_size 0
		.amdhsa_wavefront_size32 1
		.amdhsa_uses_dynamic_stack 0
		.amdhsa_enable_private_segment 0
		.amdhsa_system_sgpr_workgroup_id_x 1
		.amdhsa_system_sgpr_workgroup_id_y 0
		.amdhsa_system_sgpr_workgroup_id_z 1
		.amdhsa_system_sgpr_workgroup_info 0
		.amdhsa_system_vgpr_workitem_id 0
		.amdhsa_next_free_vgpr 8
		.amdhsa_next_free_sgpr 18
		.amdhsa_named_barrier_count 0
		.amdhsa_reserve_vcc 1
		.amdhsa_float_round_mode_32 0
		.amdhsa_float_round_mode_16_64 0
		.amdhsa_float_denorm_mode_32 3
		.amdhsa_float_denorm_mode_16_64 3
		.amdhsa_fp16_overflow 0
		.amdhsa_memory_ordered 1
		.amdhsa_forward_progress 1
		.amdhsa_inst_pref_size 4
		.amdhsa_round_robin_scheduling 0
		.amdhsa_exception_fp_ieee_invalid_op 0
		.amdhsa_exception_fp_denorm_src 0
		.amdhsa_exception_fp_ieee_div_zero 0
		.amdhsa_exception_fp_ieee_overflow 0
		.amdhsa_exception_fp_ieee_underflow 0
		.amdhsa_exception_fp_ieee_inexact 0
		.amdhsa_exception_int_div_zero 0
	.end_amdhsa_kernel
	.section	.text._ZL22rocblas_saxpy_2_kernelILi256EffPKPKDF16_PKPDF16_EviT1_lT2_llT3_lli,"axG",@progbits,_ZL22rocblas_saxpy_2_kernelILi256EffPKPKDF16_PKPDF16_EviT1_lT2_llT3_lli,comdat
.Lfunc_end193:
	.size	_ZL22rocblas_saxpy_2_kernelILi256EffPKPKDF16_PKPDF16_EviT1_lT2_llT3_lli, .Lfunc_end193-_ZL22rocblas_saxpy_2_kernelILi256EffPKPKDF16_PKPDF16_EviT1_lT2_llT3_lli
                                        ; -- End function
	.set _ZL22rocblas_saxpy_2_kernelILi256EffPKPKDF16_PKPDF16_EviT1_lT2_llT3_lli.num_vgpr, 8
	.set _ZL22rocblas_saxpy_2_kernelILi256EffPKPKDF16_PKPDF16_EviT1_lT2_llT3_lli.num_agpr, 0
	.set _ZL22rocblas_saxpy_2_kernelILi256EffPKPKDF16_PKPDF16_EviT1_lT2_llT3_lli.numbered_sgpr, 18
	.set _ZL22rocblas_saxpy_2_kernelILi256EffPKPKDF16_PKPDF16_EviT1_lT2_llT3_lli.num_named_barrier, 0
	.set _ZL22rocblas_saxpy_2_kernelILi256EffPKPKDF16_PKPDF16_EviT1_lT2_llT3_lli.private_seg_size, 0
	.set _ZL22rocblas_saxpy_2_kernelILi256EffPKPKDF16_PKPDF16_EviT1_lT2_llT3_lli.uses_vcc, 1
	.set _ZL22rocblas_saxpy_2_kernelILi256EffPKPKDF16_PKPDF16_EviT1_lT2_llT3_lli.uses_flat_scratch, 0
	.set _ZL22rocblas_saxpy_2_kernelILi256EffPKPKDF16_PKPDF16_EviT1_lT2_llT3_lli.has_dyn_sized_stack, 0
	.set _ZL22rocblas_saxpy_2_kernelILi256EffPKPKDF16_PKPDF16_EviT1_lT2_llT3_lli.has_recursion, 0
	.set _ZL22rocblas_saxpy_2_kernelILi256EffPKPKDF16_PKPDF16_EviT1_lT2_llT3_lli.has_indirect_call, 0
	.section	.AMDGPU.csdata,"",@progbits
; Kernel info:
; codeLenInByte = 448
; TotalNumSgprs: 20
; NumVgprs: 8
; ScratchSize: 0
; MemoryBound: 0
; FloatMode: 240
; IeeeMode: 1
; LDSByteSize: 0 bytes/workgroup (compile time only)
; SGPRBlocks: 0
; VGPRBlocks: 0
; NumSGPRsForWavesPerEU: 20
; NumVGPRsForWavesPerEU: 8
; NamedBarCnt: 0
; Occupancy: 16
; WaveLimiterHint : 1
; COMPUTE_PGM_RSRC2:SCRATCH_EN: 0
; COMPUTE_PGM_RSRC2:USER_SGPR: 2
; COMPUTE_PGM_RSRC2:TRAP_HANDLER: 0
; COMPUTE_PGM_RSRC2:TGID_X_EN: 1
; COMPUTE_PGM_RSRC2:TGID_Y_EN: 0
; COMPUTE_PGM_RSRC2:TGID_Z_EN: 1
; COMPUTE_PGM_RSRC2:TIDIG_COMP_CNT: 0
	.section	.text._ZL27rocblas_axpy_kernel_batchedIiLi128ELi8EfPKfPKPKDF16_PKPDF16_EviT3_lT4_lT_lT5_lSB_li,"axG",@progbits,_ZL27rocblas_axpy_kernel_batchedIiLi128ELi8EfPKfPKPKDF16_PKPDF16_EviT3_lT4_lT_lT5_lSB_li,comdat
	.globl	_ZL27rocblas_axpy_kernel_batchedIiLi128ELi8EfPKfPKPKDF16_PKPDF16_EviT3_lT4_lT_lT5_lSB_li ; -- Begin function _ZL27rocblas_axpy_kernel_batchedIiLi128ELi8EfPKfPKPKDF16_PKPDF16_EviT3_lT4_lT_lT5_lSB_li
	.p2align	8
	.type	_ZL27rocblas_axpy_kernel_batchedIiLi128ELi8EfPKfPKPKDF16_PKPDF16_EviT3_lT4_lT_lT5_lSB_li,@function
_ZL27rocblas_axpy_kernel_batchedIiLi128ELi8EfPKfPKPKDF16_PKPDF16_EviT3_lT4_lT_lT5_lSB_li: ; @_ZL27rocblas_axpy_kernel_batchedIiLi128ELi8EfPKfPKPKDF16_PKPDF16_EviT3_lT4_lT_lT5_lSB_li
; %bb.0:
	s_load_b32 s4, s[0:1], 0x0
	s_bfe_u32 s2, ttmp6, 0x4000c
	s_and_b32 s5, ttmp6, 15
	s_add_co_i32 s2, s2, 1
	s_getreg_b32 s3, hwreg(HW_REG_IB_STS2, 6, 4)
	s_mul_i32 s2, ttmp9, s2
	v_and_b32_e32 v1, 0x3ff, v0
	s_add_co_i32 s2, s5, s2
	v_mov_b32_e32 v5, 0
	s_wait_kmcnt 0x0
	s_ashr_i32 s5, s4, 31
	s_cmp_eq_u32 s3, 0
	s_cselect_b32 s2, ttmp9, s2
	s_delay_alu instid0(SALU_CYCLE_1) | instskip(SKIP_1) | instid1(VALU_DEP_1)
	v_lshl_add_u32 v4, s2, 7, v1
	s_mov_b32 s2, exec_lo
	v_cmpx_gt_i64_e64 s[4:5], v[4:5]
	s_cbranch_execz .LBB194_15
; %bb.1:
	s_load_b32 s2, s[0:1], 0x58
	s_bfe_u32 s4, ttmp6, 0x40014
	v_lshrrev_b32_e32 v0, 8, v0
	s_lshr_b32 s5, ttmp7, 16
	s_add_co_i32 s4, s4, 1
	s_bfe_u32 s6, ttmp6, 0x40008
	s_mul_i32 s4, s5, s4
	v_and_b32_e32 v0, 0xffc, v0
	s_add_co_i32 s6, s6, s4
	s_cmp_eq_u32 s3, 0
	s_cselect_b32 s3, s5, s6
	s_delay_alu instid0(VALU_DEP_1) | instid1(SALU_CYCLE_1)
	v_lshl_add_u32 v0, s3, 5, v0
	s_wait_kmcnt 0x0
	s_delay_alu instid0(VALU_DEP_1)
	v_cmp_gt_u32_e32 vcc_lo, s2, v0
	s_and_b32 exec_lo, exec_lo, vcc_lo
	s_cbranch_execz .LBB194_15
; %bb.2:
	s_clause 0x3
	s_load_b32 s4, s[0:1], 0x28
	s_load_b32 s6, s[0:1], 0x48
	s_load_b128 s[12:15], s[0:1], 0x38
	s_load_b32 s3, s[0:1], 0x68
	v_mov_b32_e32 v1, 0
	s_wait_kmcnt 0x0
	s_ashr_i32 s5, s4, 31
	s_ashr_i32 s7, s6, 31
	v_mul_u64_e32 v[2:3], s[4:5], v[4:5]
	v_mul_u64_e32 v[4:5], s[6:7], v[4:5]
	s_load_b256 s[4:11], s[0:1], 0x8
	s_wait_xcnt 0x0
	s_lshl_b32 s0, s3, 5
	s_mov_b32 s1, 0
	s_branch .LBB194_4
.LBB194_3:                              ;   in Loop: Header=BB194_4 Depth=1
	s_wait_xcnt 0x0
	s_or_b32 exec_lo, exec_lo, s3
	v_add_nc_u32_e32 v0, s0, v0
	s_delay_alu instid0(VALU_DEP_1) | instskip(SKIP_1) | instid1(SALU_CYCLE_1)
	v_cmp_le_u32_e32 vcc_lo, s2, v0
	s_or_b32 s1, vcc_lo, s1
	s_and_not1_b32 exec_lo, exec_lo, s1
	s_cbranch_execz .LBB194_15
.LBB194_4:                              ; =>This Inner Loop Header: Depth=1
	s_wait_kmcnt 0x0
	v_mul_u64_e32 v[6:7], s[6:7], v[0:1]
	s_mov_b32 s3, exec_lo
	s_delay_alu instid0(VALU_DEP_1)
	v_lshl_add_u64 v[6:7], v[6:7], 2, s[4:5]
	global_load_b32 v6, v[6:7], off
	s_wait_loadcnt 0x0
	s_wait_xcnt 0x0
	v_cmpx_neq_f32_e32 0, v6
	s_cbranch_execz .LBB194_6
; %bb.5:                                ;   in Loop: Header=BB194_4 Depth=1
	v_lshlrev_b64_e32 v[8:9], 3, v[0:1]
	s_delay_alu instid0(VALU_DEP_1)
	v_add_nc_u64_e32 v[10:11], s[12:13], v[8:9]
	v_add_nc_u64_e32 v[8:9], s[8:9], v[8:9]
	global_load_b64 v[12:13], v[10:11], off
	global_load_b64 v[14:15], v[8:9], off
	s_wait_loadcnt 0x1
	s_wait_xcnt 0x0
	v_lshl_add_u64 v[8:9], s[14:15], 1, v[12:13]
	s_wait_loadcnt 0x0
	v_lshl_add_u64 v[10:11], s[10:11], 1, v[14:15]
	s_delay_alu instid0(VALU_DEP_2) | instskip(NEXT) | instid1(VALU_DEP_2)
	v_lshl_add_u64 v[8:9], v[4:5], 1, v[8:9]
	v_lshl_add_u64 v[10:11], v[2:3], 1, v[10:11]
	flat_load_u16 v7, v[8:9]
	flat_load_u16 v12, v[10:11]
	s_wait_loadcnt_dscnt 0x0
	v_fma_mixlo_f16 v6, v6, v12, v7 op_sel_hi:[0,1,1]
	flat_store_b16 v[8:9], v6
.LBB194_6:                              ;   in Loop: Header=BB194_4 Depth=1
	s_wait_xcnt 0x0
	s_or_b32 exec_lo, exec_lo, s3
	v_add_nc_u32_e32 v6, 1, v0
	s_mov_b32 s3, exec_lo
	s_delay_alu instid0(VALU_DEP_1)
	v_cmpx_gt_u32_e64 s2, v6
	s_cbranch_execz .LBB194_9
; %bb.7:                                ;   in Loop: Header=BB194_4 Depth=1
	v_mov_b32_e32 v7, v1
	s_delay_alu instid0(VALU_DEP_1) | instskip(NEXT) | instid1(VALU_DEP_1)
	v_mul_u64_e32 v[6:7], s[6:7], v[6:7]
	v_lshl_add_u64 v[6:7], v[6:7], 2, s[4:5]
	global_load_b32 v6, v[6:7], off
	s_wait_loadcnt 0x0
	v_cmp_neq_f32_e32 vcc_lo, 0, v6
	s_wait_xcnt 0x0
	s_and_b32 exec_lo, exec_lo, vcc_lo
	s_cbranch_execz .LBB194_9
; %bb.8:                                ;   in Loop: Header=BB194_4 Depth=1
	v_lshlrev_b64_e32 v[8:9], 3, v[0:1]
	s_delay_alu instid0(VALU_DEP_1)
	v_add_nc_u64_e32 v[10:11], s[12:13], v[8:9]
	v_add_nc_u64_e32 v[8:9], s[8:9], v[8:9]
	global_load_b64 v[12:13], v[10:11], off offset:8
	global_load_b64 v[14:15], v[8:9], off offset:8
	s_wait_loadcnt 0x1
	s_wait_xcnt 0x0
	v_lshl_add_u64 v[8:9], s[14:15], 1, v[12:13]
	s_wait_loadcnt 0x0
	v_lshl_add_u64 v[10:11], s[10:11], 1, v[14:15]
	s_delay_alu instid0(VALU_DEP_2) | instskip(NEXT) | instid1(VALU_DEP_2)
	v_lshl_add_u64 v[8:9], v[4:5], 1, v[8:9]
	v_lshl_add_u64 v[10:11], v[2:3], 1, v[10:11]
	flat_load_u16 v7, v[8:9]
	flat_load_u16 v12, v[10:11]
	s_wait_loadcnt_dscnt 0x0
	v_fma_mixlo_f16 v6, v6, v12, v7 op_sel_hi:[0,1,1]
	flat_store_b16 v[8:9], v6
.LBB194_9:                              ;   in Loop: Header=BB194_4 Depth=1
	s_wait_xcnt 0x0
	s_or_b32 exec_lo, exec_lo, s3
	v_add_nc_u32_e32 v6, 2, v0
	s_mov_b32 s3, exec_lo
	s_delay_alu instid0(VALU_DEP_1)
	v_cmpx_gt_u32_e64 s2, v6
	s_cbranch_execz .LBB194_12
; %bb.10:                               ;   in Loop: Header=BB194_4 Depth=1
	v_mov_b32_e32 v7, v1
	s_delay_alu instid0(VALU_DEP_1) | instskip(NEXT) | instid1(VALU_DEP_1)
	v_mul_u64_e32 v[6:7], s[6:7], v[6:7]
	v_lshl_add_u64 v[6:7], v[6:7], 2, s[4:5]
	global_load_b32 v6, v[6:7], off
	s_wait_loadcnt 0x0
	v_cmp_neq_f32_e32 vcc_lo, 0, v6
	s_wait_xcnt 0x0
	s_and_b32 exec_lo, exec_lo, vcc_lo
	s_cbranch_execz .LBB194_12
; %bb.11:                               ;   in Loop: Header=BB194_4 Depth=1
	v_lshlrev_b64_e32 v[8:9], 3, v[0:1]
	s_delay_alu instid0(VALU_DEP_1)
	v_add_nc_u64_e32 v[10:11], s[12:13], v[8:9]
	v_add_nc_u64_e32 v[8:9], s[8:9], v[8:9]
	global_load_b64 v[12:13], v[10:11], off offset:16
	global_load_b64 v[14:15], v[8:9], off offset:16
	s_wait_loadcnt 0x1
	s_wait_xcnt 0x0
	v_lshl_add_u64 v[8:9], s[14:15], 1, v[12:13]
	s_wait_loadcnt 0x0
	v_lshl_add_u64 v[10:11], s[10:11], 1, v[14:15]
	s_delay_alu instid0(VALU_DEP_2) | instskip(NEXT) | instid1(VALU_DEP_2)
	v_lshl_add_u64 v[8:9], v[4:5], 1, v[8:9]
	v_lshl_add_u64 v[10:11], v[2:3], 1, v[10:11]
	flat_load_u16 v7, v[8:9]
	flat_load_u16 v12, v[10:11]
	s_wait_loadcnt_dscnt 0x0
	v_fma_mixlo_f16 v6, v6, v12, v7 op_sel_hi:[0,1,1]
	flat_store_b16 v[8:9], v6
.LBB194_12:                             ;   in Loop: Header=BB194_4 Depth=1
	s_wait_xcnt 0x0
	s_or_b32 exec_lo, exec_lo, s3
	v_add_nc_u32_e32 v6, 3, v0
	s_mov_b32 s3, exec_lo
	s_delay_alu instid0(VALU_DEP_1)
	v_cmpx_gt_u32_e64 s2, v6
	s_cbranch_execz .LBB194_3
; %bb.13:                               ;   in Loop: Header=BB194_4 Depth=1
	v_mov_b32_e32 v7, v1
	s_delay_alu instid0(VALU_DEP_1) | instskip(NEXT) | instid1(VALU_DEP_1)
	v_mul_u64_e32 v[6:7], s[6:7], v[6:7]
	v_lshl_add_u64 v[6:7], v[6:7], 2, s[4:5]
	global_load_b32 v6, v[6:7], off
	s_wait_loadcnt 0x0
	v_cmp_neq_f32_e32 vcc_lo, 0, v6
	s_wait_xcnt 0x0
	s_and_b32 exec_lo, exec_lo, vcc_lo
	s_cbranch_execz .LBB194_3
; %bb.14:                               ;   in Loop: Header=BB194_4 Depth=1
	v_lshlrev_b64_e32 v[8:9], 3, v[0:1]
	s_delay_alu instid0(VALU_DEP_1)
	v_add_nc_u64_e32 v[10:11], s[12:13], v[8:9]
	v_add_nc_u64_e32 v[8:9], s[8:9], v[8:9]
	global_load_b64 v[12:13], v[10:11], off offset:24
	global_load_b64 v[14:15], v[8:9], off offset:24
	s_wait_loadcnt 0x1
	s_wait_xcnt 0x0
	v_lshl_add_u64 v[8:9], s[14:15], 1, v[12:13]
	s_wait_loadcnt 0x0
	v_lshl_add_u64 v[10:11], s[10:11], 1, v[14:15]
	s_delay_alu instid0(VALU_DEP_2) | instskip(NEXT) | instid1(VALU_DEP_2)
	v_lshl_add_u64 v[8:9], v[4:5], 1, v[8:9]
	v_lshl_add_u64 v[10:11], v[2:3], 1, v[10:11]
	flat_load_u16 v7, v[8:9]
	flat_load_u16 v12, v[10:11]
	s_wait_loadcnt_dscnt 0x0
	v_fma_mixlo_f16 v6, v6, v12, v7 op_sel_hi:[0,1,1]
	flat_store_b16 v[8:9], v6
	s_branch .LBB194_3
.LBB194_15:
	s_endpgm
	.section	.rodata,"a",@progbits
	.p2align	6, 0x0
	.amdhsa_kernel _ZL27rocblas_axpy_kernel_batchedIiLi128ELi8EfPKfPKPKDF16_PKPDF16_EviT3_lT4_lT_lT5_lSB_li
		.amdhsa_group_segment_fixed_size 0
		.amdhsa_private_segment_fixed_size 0
		.amdhsa_kernarg_size 352
		.amdhsa_user_sgpr_count 2
		.amdhsa_user_sgpr_dispatch_ptr 0
		.amdhsa_user_sgpr_queue_ptr 0
		.amdhsa_user_sgpr_kernarg_segment_ptr 1
		.amdhsa_user_sgpr_dispatch_id 0
		.amdhsa_user_sgpr_kernarg_preload_length 0
		.amdhsa_user_sgpr_kernarg_preload_offset 0
		.amdhsa_user_sgpr_private_segment_size 0
		.amdhsa_wavefront_size32 1
		.amdhsa_uses_dynamic_stack 0
		.amdhsa_enable_private_segment 0
		.amdhsa_system_sgpr_workgroup_id_x 1
		.amdhsa_system_sgpr_workgroup_id_y 0
		.amdhsa_system_sgpr_workgroup_id_z 1
		.amdhsa_system_sgpr_workgroup_info 0
		.amdhsa_system_vgpr_workitem_id 1
		.amdhsa_next_free_vgpr 16
		.amdhsa_next_free_sgpr 16
		.amdhsa_named_barrier_count 0
		.amdhsa_reserve_vcc 1
		.amdhsa_float_round_mode_32 0
		.amdhsa_float_round_mode_16_64 0
		.amdhsa_float_denorm_mode_32 3
		.amdhsa_float_denorm_mode_16_64 3
		.amdhsa_fp16_overflow 0
		.amdhsa_memory_ordered 1
		.amdhsa_forward_progress 1
		.amdhsa_inst_pref_size 10
		.amdhsa_round_robin_scheduling 0
		.amdhsa_exception_fp_ieee_invalid_op 0
		.amdhsa_exception_fp_denorm_src 0
		.amdhsa_exception_fp_ieee_div_zero 0
		.amdhsa_exception_fp_ieee_overflow 0
		.amdhsa_exception_fp_ieee_underflow 0
		.amdhsa_exception_fp_ieee_inexact 0
		.amdhsa_exception_int_div_zero 0
	.end_amdhsa_kernel
	.section	.text._ZL27rocblas_axpy_kernel_batchedIiLi128ELi8EfPKfPKPKDF16_PKPDF16_EviT3_lT4_lT_lT5_lSB_li,"axG",@progbits,_ZL27rocblas_axpy_kernel_batchedIiLi128ELi8EfPKfPKPKDF16_PKPDF16_EviT3_lT4_lT_lT5_lSB_li,comdat
.Lfunc_end194:
	.size	_ZL27rocblas_axpy_kernel_batchedIiLi128ELi8EfPKfPKPKDF16_PKPDF16_EviT3_lT4_lT_lT5_lSB_li, .Lfunc_end194-_ZL27rocblas_axpy_kernel_batchedIiLi128ELi8EfPKfPKPKDF16_PKPDF16_EviT3_lT4_lT_lT5_lSB_li
                                        ; -- End function
	.set _ZL27rocblas_axpy_kernel_batchedIiLi128ELi8EfPKfPKPKDF16_PKPDF16_EviT3_lT4_lT_lT5_lSB_li.num_vgpr, 16
	.set _ZL27rocblas_axpy_kernel_batchedIiLi128ELi8EfPKfPKPKDF16_PKPDF16_EviT3_lT4_lT_lT5_lSB_li.num_agpr, 0
	.set _ZL27rocblas_axpy_kernel_batchedIiLi128ELi8EfPKfPKPKDF16_PKPDF16_EviT3_lT4_lT_lT5_lSB_li.numbered_sgpr, 16
	.set _ZL27rocblas_axpy_kernel_batchedIiLi128ELi8EfPKfPKPKDF16_PKPDF16_EviT3_lT4_lT_lT5_lSB_li.num_named_barrier, 0
	.set _ZL27rocblas_axpy_kernel_batchedIiLi128ELi8EfPKfPKPKDF16_PKPDF16_EviT3_lT4_lT_lT5_lSB_li.private_seg_size, 0
	.set _ZL27rocblas_axpy_kernel_batchedIiLi128ELi8EfPKfPKPKDF16_PKPDF16_EviT3_lT4_lT_lT5_lSB_li.uses_vcc, 1
	.set _ZL27rocblas_axpy_kernel_batchedIiLi128ELi8EfPKfPKPKDF16_PKPDF16_EviT3_lT4_lT_lT5_lSB_li.uses_flat_scratch, 0
	.set _ZL27rocblas_axpy_kernel_batchedIiLi128ELi8EfPKfPKPKDF16_PKPDF16_EviT3_lT4_lT_lT5_lSB_li.has_dyn_sized_stack, 0
	.set _ZL27rocblas_axpy_kernel_batchedIiLi128ELi8EfPKfPKPKDF16_PKPDF16_EviT3_lT4_lT_lT5_lSB_li.has_recursion, 0
	.set _ZL27rocblas_axpy_kernel_batchedIiLi128ELi8EfPKfPKPKDF16_PKPDF16_EviT3_lT4_lT_lT5_lSB_li.has_indirect_call, 0
	.section	.AMDGPU.csdata,"",@progbits
; Kernel info:
; codeLenInByte = 1156
; TotalNumSgprs: 18
; NumVgprs: 16
; ScratchSize: 0
; MemoryBound: 0
; FloatMode: 240
; IeeeMode: 1
; LDSByteSize: 0 bytes/workgroup (compile time only)
; SGPRBlocks: 0
; VGPRBlocks: 0
; NumSGPRsForWavesPerEU: 18
; NumVGPRsForWavesPerEU: 16
; NamedBarCnt: 0
; Occupancy: 16
; WaveLimiterHint : 1
; COMPUTE_PGM_RSRC2:SCRATCH_EN: 0
; COMPUTE_PGM_RSRC2:USER_SGPR: 2
; COMPUTE_PGM_RSRC2:TRAP_HANDLER: 0
; COMPUTE_PGM_RSRC2:TGID_X_EN: 1
; COMPUTE_PGM_RSRC2:TGID_Y_EN: 0
; COMPUTE_PGM_RSRC2:TGID_Z_EN: 1
; COMPUTE_PGM_RSRC2:TIDIG_COMP_CNT: 1
	.section	.text._ZL27rocblas_axpy_kernel_batchedIiLi128ELi8EffPKPKDF16_PKPDF16_EviT3_lT4_lT_lT5_lS9_li,"axG",@progbits,_ZL27rocblas_axpy_kernel_batchedIiLi128ELi8EffPKPKDF16_PKPDF16_EviT3_lT4_lT_lT5_lS9_li,comdat
	.globl	_ZL27rocblas_axpy_kernel_batchedIiLi128ELi8EffPKPKDF16_PKPDF16_EviT3_lT4_lT_lT5_lS9_li ; -- Begin function _ZL27rocblas_axpy_kernel_batchedIiLi128ELi8EffPKPKDF16_PKPDF16_EviT3_lT4_lT_lT5_lS9_li
	.p2align	8
	.type	_ZL27rocblas_axpy_kernel_batchedIiLi128ELi8EffPKPKDF16_PKPDF16_EviT3_lT4_lT_lT5_lS9_li,@function
_ZL27rocblas_axpy_kernel_batchedIiLi128ELi8EffPKPKDF16_PKPDF16_EviT3_lT4_lT_lT5_lS9_li: ; @_ZL27rocblas_axpy_kernel_batchedIiLi128ELi8EffPKPKDF16_PKPDF16_EviT3_lT4_lT_lT5_lS9_li
; %bb.0:
	s_load_b64 s[2:3], s[0:1], 0x0
	s_bfe_u32 s4, ttmp6, 0x4000c
	s_and_b32 s5, ttmp6, 15
	s_add_co_i32 s6, s4, 1
	s_getreg_b32 s4, hwreg(HW_REG_IB_STS2, 6, 4)
	s_mul_i32 s6, ttmp9, s6
	v_and_b32_e32 v1, 0x3ff, v0
	s_add_co_i32 s5, s5, s6
	s_cmp_eq_u32 s4, 0
	v_mov_b32_e32 v3, 0
	s_cselect_b32 s5, ttmp9, s5
	s_delay_alu instid0(SALU_CYCLE_1)
	v_lshl_add_u32 v2, s5, 7, v1
	s_wait_kmcnt 0x0
	s_ashr_i32 s7, s2, 31
	s_mov_b32 s6, s2
	s_mov_b32 s2, exec_lo
	v_cmpx_gt_i64_e64 s[6:7], v[2:3]
	s_cbranch_execz .LBB195_12
; %bb.1:
	s_load_b32 s2, s[0:1], 0x50
	s_bfe_u32 s5, ttmp6, 0x40014
	v_lshrrev_b32_e32 v0, 8, v0
	s_lshr_b32 s6, ttmp7, 16
	s_add_co_i32 s5, s5, 1
	s_bfe_u32 s7, ttmp6, 0x40008
	s_mul_i32 s5, s6, s5
	v_and_b32_e32 v0, 0xffc, v0
	s_add_co_i32 s7, s7, s5
	s_cmp_eq_u32 s4, 0
	s_cselect_b32 s4, s6, s7
	s_delay_alu instid0(VALU_DEP_1) | instid1(SALU_CYCLE_1)
	v_lshl_add_u32 v4, s4, 5, v0
	s_wait_kmcnt 0x0
	s_delay_alu instid0(VALU_DEP_1)
	v_cmp_gt_u32_e32 vcc_lo, s2, v4
	s_and_b32 exec_lo, exec_lo, vcc_lo
	s_cbranch_execz .LBB195_12
; %bb.2:
	s_clause 0x2
	s_load_b32 s4, s[0:1], 0x20
	s_load_b32 s6, s[0:1], 0x40
	;; [unrolled: 1-line block ×3, first 2 shown]
	s_wait_kmcnt 0x0
	s_ashr_i32 s5, s4, 31
	s_ashr_i32 s7, s6, 31
	v_mul_u64_e32 v[0:1], s[4:5], v[2:3]
	v_mul_u64_e32 v[2:3], s[6:7], v[2:3]
	s_clause 0x1
	s_load_b128 s[4:7], s[0:1], 0x10
	s_load_b128 s[8:11], s[0:1], 0x30
	s_cmp_neq_f32 s3, 0
	s_wait_xcnt 0x0
	s_mov_b32 s1, 0
	s_cselect_b32 s0, -1, 0
	s_lshl_b32 s12, s12, 5
	s_branch .LBB195_4
.LBB195_3:                              ;   in Loop: Header=BB195_4 Depth=1
	s_wait_xcnt 0x0
	s_or_b32 exec_lo, exec_lo, s13
	v_add_nc_u32_e32 v4, s12, v4
	s_delay_alu instid0(VALU_DEP_1) | instskip(SKIP_1) | instid1(SALU_CYCLE_1)
	v_cmp_le_u32_e32 vcc_lo, s2, v4
	s_or_b32 s1, vcc_lo, s1
	s_and_not1_b32 exec_lo, exec_lo, s1
	s_cbranch_execz .LBB195_12
.LBB195_4:                              ; =>This Inner Loop Header: Depth=1
	s_and_not1_b32 vcc_lo, exec_lo, s0
	s_cbranch_vccnz .LBB195_6
; %bb.5:                                ;   in Loop: Header=BB195_4 Depth=1
	s_wait_kmcnt 0x0
	s_clause 0x1
	global_load_b64 v[6:7], v4, s[8:9] scale_offset
	global_load_b64 v[8:9], v4, s[4:5] scale_offset
	s_wait_loadcnt 0x1
	v_lshl_add_u64 v[6:7], s[10:11], 1, v[6:7]
	s_wait_loadcnt 0x0
	v_lshl_add_u64 v[8:9], s[6:7], 1, v[8:9]
	s_delay_alu instid0(VALU_DEP_2) | instskip(NEXT) | instid1(VALU_DEP_2)
	v_lshl_add_u64 v[6:7], v[2:3], 1, v[6:7]
	v_lshl_add_u64 v[8:9], v[0:1], 1, v[8:9]
	flat_load_u16 v5, v[6:7]
	flat_load_u16 v10, v[8:9]
	s_wait_loadcnt_dscnt 0x0
	v_fma_mixlo_f16 v5, s3, v10, v5 op_sel_hi:[0,1,1]
	flat_store_b16 v[6:7], v5
.LBB195_6:                              ;   in Loop: Header=BB195_4 Depth=1
	s_wait_xcnt 0x0
	v_add_nc_u32_e32 v5, 1, v4
	s_delay_alu instid0(VALU_DEP_1) | instskip(SKIP_1) | instid1(SALU_CYCLE_1)
	v_cmp_gt_u32_e32 vcc_lo, s2, v5
	s_and_b32 s14, s0, vcc_lo
	s_and_saveexec_b32 s13, s14
	s_cbranch_execz .LBB195_8
; %bb.7:                                ;   in Loop: Header=BB195_4 Depth=1
	s_wait_kmcnt 0x0
	s_clause 0x1
	global_load_b64 v[6:7], v4, s[8:9] offset:8 scale_offset
	global_load_b64 v[8:9], v4, s[4:5] offset:8 scale_offset
	s_wait_loadcnt 0x1
	v_lshl_add_u64 v[6:7], s[10:11], 1, v[6:7]
	s_wait_loadcnt 0x0
	v_lshl_add_u64 v[8:9], s[6:7], 1, v[8:9]
	s_delay_alu instid0(VALU_DEP_2) | instskip(NEXT) | instid1(VALU_DEP_2)
	v_lshl_add_u64 v[6:7], v[2:3], 1, v[6:7]
	v_lshl_add_u64 v[8:9], v[0:1], 1, v[8:9]
	flat_load_u16 v5, v[6:7]
	flat_load_u16 v10, v[8:9]
	s_wait_loadcnt_dscnt 0x0
	v_fma_mixlo_f16 v5, s3, v10, v5 op_sel_hi:[0,1,1]
	flat_store_b16 v[6:7], v5
.LBB195_8:                              ;   in Loop: Header=BB195_4 Depth=1
	s_wait_xcnt 0x0
	s_or_b32 exec_lo, exec_lo, s13
	v_add_nc_u32_e32 v5, 2, v4
	s_delay_alu instid0(VALU_DEP_1) | instskip(SKIP_1) | instid1(SALU_CYCLE_1)
	v_cmp_gt_u32_e32 vcc_lo, s2, v5
	s_and_b32 s14, s0, vcc_lo
	s_and_saveexec_b32 s13, s14
	s_cbranch_execz .LBB195_10
; %bb.9:                                ;   in Loop: Header=BB195_4 Depth=1
	s_wait_kmcnt 0x0
	s_clause 0x1
	global_load_b64 v[6:7], v4, s[8:9] offset:16 scale_offset
	global_load_b64 v[8:9], v4, s[4:5] offset:16 scale_offset
	s_wait_loadcnt 0x1
	v_lshl_add_u64 v[6:7], s[10:11], 1, v[6:7]
	s_wait_loadcnt 0x0
	v_lshl_add_u64 v[8:9], s[6:7], 1, v[8:9]
	s_delay_alu instid0(VALU_DEP_2) | instskip(NEXT) | instid1(VALU_DEP_2)
	v_lshl_add_u64 v[6:7], v[2:3], 1, v[6:7]
	v_lshl_add_u64 v[8:9], v[0:1], 1, v[8:9]
	flat_load_u16 v5, v[6:7]
	flat_load_u16 v10, v[8:9]
	s_wait_loadcnt_dscnt 0x0
	v_fma_mixlo_f16 v5, s3, v10, v5 op_sel_hi:[0,1,1]
	flat_store_b16 v[6:7], v5
.LBB195_10:                             ;   in Loop: Header=BB195_4 Depth=1
	s_wait_xcnt 0x0
	s_or_b32 exec_lo, exec_lo, s13
	v_add_nc_u32_e32 v5, 3, v4
	s_delay_alu instid0(VALU_DEP_1) | instskip(SKIP_1) | instid1(SALU_CYCLE_1)
	v_cmp_gt_u32_e32 vcc_lo, s2, v5
	s_and_b32 s14, s0, vcc_lo
	s_and_saveexec_b32 s13, s14
	s_cbranch_execz .LBB195_3
; %bb.11:                               ;   in Loop: Header=BB195_4 Depth=1
	s_wait_kmcnt 0x0
	s_clause 0x1
	global_load_b64 v[6:7], v4, s[8:9] offset:24 scale_offset
	global_load_b64 v[8:9], v4, s[4:5] offset:24 scale_offset
	s_wait_loadcnt 0x1
	v_lshl_add_u64 v[6:7], s[10:11], 1, v[6:7]
	s_wait_loadcnt 0x0
	v_lshl_add_u64 v[8:9], s[6:7], 1, v[8:9]
	s_delay_alu instid0(VALU_DEP_2) | instskip(NEXT) | instid1(VALU_DEP_2)
	v_lshl_add_u64 v[6:7], v[2:3], 1, v[6:7]
	v_lshl_add_u64 v[8:9], v[0:1], 1, v[8:9]
	flat_load_u16 v5, v[6:7]
	flat_load_u16 v10, v[8:9]
	s_wait_loadcnt_dscnt 0x0
	v_fma_mixlo_f16 v5, s3, v10, v5 op_sel_hi:[0,1,1]
	flat_store_b16 v[6:7], v5
	s_branch .LBB195_3
.LBB195_12:
	s_endpgm
	.section	.rodata,"a",@progbits
	.p2align	6, 0x0
	.amdhsa_kernel _ZL27rocblas_axpy_kernel_batchedIiLi128ELi8EffPKPKDF16_PKPDF16_EviT3_lT4_lT_lT5_lS9_li
		.amdhsa_group_segment_fixed_size 0
		.amdhsa_private_segment_fixed_size 0
		.amdhsa_kernarg_size 344
		.amdhsa_user_sgpr_count 2
		.amdhsa_user_sgpr_dispatch_ptr 0
		.amdhsa_user_sgpr_queue_ptr 0
		.amdhsa_user_sgpr_kernarg_segment_ptr 1
		.amdhsa_user_sgpr_dispatch_id 0
		.amdhsa_user_sgpr_kernarg_preload_length 0
		.amdhsa_user_sgpr_kernarg_preload_offset 0
		.amdhsa_user_sgpr_private_segment_size 0
		.amdhsa_wavefront_size32 1
		.amdhsa_uses_dynamic_stack 0
		.amdhsa_enable_private_segment 0
		.amdhsa_system_sgpr_workgroup_id_x 1
		.amdhsa_system_sgpr_workgroup_id_y 0
		.amdhsa_system_sgpr_workgroup_id_z 1
		.amdhsa_system_sgpr_workgroup_info 0
		.amdhsa_system_vgpr_workitem_id 1
		.amdhsa_next_free_vgpr 11
		.amdhsa_next_free_sgpr 15
		.amdhsa_named_barrier_count 0
		.amdhsa_reserve_vcc 1
		.amdhsa_float_round_mode_32 0
		.amdhsa_float_round_mode_16_64 0
		.amdhsa_float_denorm_mode_32 3
		.amdhsa_float_denorm_mode_16_64 3
		.amdhsa_fp16_overflow 0
		.amdhsa_memory_ordered 1
		.amdhsa_forward_progress 1
		.amdhsa_inst_pref_size 8
		.amdhsa_round_robin_scheduling 0
		.amdhsa_exception_fp_ieee_invalid_op 0
		.amdhsa_exception_fp_denorm_src 0
		.amdhsa_exception_fp_ieee_div_zero 0
		.amdhsa_exception_fp_ieee_overflow 0
		.amdhsa_exception_fp_ieee_underflow 0
		.amdhsa_exception_fp_ieee_inexact 0
		.amdhsa_exception_int_div_zero 0
	.end_amdhsa_kernel
	.section	.text._ZL27rocblas_axpy_kernel_batchedIiLi128ELi8EffPKPKDF16_PKPDF16_EviT3_lT4_lT_lT5_lS9_li,"axG",@progbits,_ZL27rocblas_axpy_kernel_batchedIiLi128ELi8EffPKPKDF16_PKPDF16_EviT3_lT4_lT_lT5_lS9_li,comdat
.Lfunc_end195:
	.size	_ZL27rocblas_axpy_kernel_batchedIiLi128ELi8EffPKPKDF16_PKPDF16_EviT3_lT4_lT_lT5_lS9_li, .Lfunc_end195-_ZL27rocblas_axpy_kernel_batchedIiLi128ELi8EffPKPKDF16_PKPDF16_EviT3_lT4_lT_lT5_lS9_li
                                        ; -- End function
	.set _ZL27rocblas_axpy_kernel_batchedIiLi128ELi8EffPKPKDF16_PKPDF16_EviT3_lT4_lT_lT5_lS9_li.num_vgpr, 11
	.set _ZL27rocblas_axpy_kernel_batchedIiLi128ELi8EffPKPKDF16_PKPDF16_EviT3_lT4_lT_lT5_lS9_li.num_agpr, 0
	.set _ZL27rocblas_axpy_kernel_batchedIiLi128ELi8EffPKPKDF16_PKPDF16_EviT3_lT4_lT_lT5_lS9_li.numbered_sgpr, 15
	.set _ZL27rocblas_axpy_kernel_batchedIiLi128ELi8EffPKPKDF16_PKPDF16_EviT3_lT4_lT_lT5_lS9_li.num_named_barrier, 0
	.set _ZL27rocblas_axpy_kernel_batchedIiLi128ELi8EffPKPKDF16_PKPDF16_EviT3_lT4_lT_lT5_lS9_li.private_seg_size, 0
	.set _ZL27rocblas_axpy_kernel_batchedIiLi128ELi8EffPKPKDF16_PKPDF16_EviT3_lT4_lT_lT5_lS9_li.uses_vcc, 1
	.set _ZL27rocblas_axpy_kernel_batchedIiLi128ELi8EffPKPKDF16_PKPDF16_EviT3_lT4_lT_lT5_lS9_li.uses_flat_scratch, 0
	.set _ZL27rocblas_axpy_kernel_batchedIiLi128ELi8EffPKPKDF16_PKPDF16_EviT3_lT4_lT_lT5_lS9_li.has_dyn_sized_stack, 0
	.set _ZL27rocblas_axpy_kernel_batchedIiLi128ELi8EffPKPKDF16_PKPDF16_EviT3_lT4_lT_lT5_lS9_li.has_recursion, 0
	.set _ZL27rocblas_axpy_kernel_batchedIiLi128ELi8EffPKPKDF16_PKPDF16_EviT3_lT4_lT_lT5_lS9_li.has_indirect_call, 0
	.section	.AMDGPU.csdata,"",@progbits
; Kernel info:
; codeLenInByte = 916
; TotalNumSgprs: 17
; NumVgprs: 11
; ScratchSize: 0
; MemoryBound: 0
; FloatMode: 240
; IeeeMode: 1
; LDSByteSize: 0 bytes/workgroup (compile time only)
; SGPRBlocks: 0
; VGPRBlocks: 0
; NumSGPRsForWavesPerEU: 17
; NumVGPRsForWavesPerEU: 11
; NamedBarCnt: 0
; Occupancy: 16
; WaveLimiterHint : 1
; COMPUTE_PGM_RSRC2:SCRATCH_EN: 0
; COMPUTE_PGM_RSRC2:USER_SGPR: 2
; COMPUTE_PGM_RSRC2:TRAP_HANDLER: 0
; COMPUTE_PGM_RSRC2:TGID_X_EN: 1
; COMPUTE_PGM_RSRC2:TGID_Y_EN: 0
; COMPUTE_PGM_RSRC2:TGID_Z_EN: 1
; COMPUTE_PGM_RSRC2:TIDIG_COMP_CNT: 1
	.section	.text._ZL19rocblas_axpy_kernelIiLi256EfPKfPKPKDF16_PKPDF16_EviT2_lT3_lT_lT4_lSB_li,"axG",@progbits,_ZL19rocblas_axpy_kernelIiLi256EfPKfPKPKDF16_PKPDF16_EviT2_lT3_lT_lT4_lSB_li,comdat
	.globl	_ZL19rocblas_axpy_kernelIiLi256EfPKfPKPKDF16_PKPDF16_EviT2_lT3_lT_lT4_lSB_li ; -- Begin function _ZL19rocblas_axpy_kernelIiLi256EfPKfPKPKDF16_PKPDF16_EviT2_lT3_lT_lT4_lSB_li
	.p2align	8
	.type	_ZL19rocblas_axpy_kernelIiLi256EfPKfPKPKDF16_PKPDF16_EviT2_lT3_lT_lT4_lSB_li,@function
_ZL19rocblas_axpy_kernelIiLi256EfPKfPKPKDF16_PKPDF16_EviT2_lT3_lT_lT4_lSB_li: ; @_ZL19rocblas_axpy_kernelIiLi256EfPKfPKPKDF16_PKPDF16_EviT2_lT3_lT_lT4_lSB_li
; %bb.0:
	s_load_b32 s16, s[0:1], 0x58
	s_bfe_u32 s2, ttmp6, 0x40014
	s_lshr_b32 s3, ttmp7, 16
	s_add_co_i32 s2, s2, 1
	s_bfe_u32 s5, ttmp6, 0x40008
	s_mul_i32 s2, s3, s2
	s_getreg_b32 s4, hwreg(HW_REG_IB_STS2, 6, 4)
	s_add_co_i32 s5, s5, s2
	s_cmp_eq_u32 s4, 0
	s_cselect_b32 s2, s3, s5
	s_mov_b32 s3, 0
	s_wait_kmcnt 0x0
	s_cmp_ge_u32 s2, s16
	s_cbranch_scc1 .LBB196_5
; %bb.1:
	s_clause 0x2
	s_load_b32 s18, s[0:1], 0x0
	s_load_b32 s6, s[0:1], 0x48
	;; [unrolled: 1-line block ×3, first 2 shown]
	s_bfe_u32 s5, ttmp6, 0x4000c
	s_and_b32 s7, ttmp6, 15
	s_add_co_i32 s5, s5, 1
	v_mov_b32_e32 v5, 0
	s_mul_i32 s5, ttmp9, s5
	s_delay_alu instid0(SALU_CYCLE_1)
	s_add_co_i32 s5, s7, s5
	s_wait_kmcnt 0x0
	s_ashr_i32 s19, s18, 31
	s_ashr_i32 s7, s6, 31
	;; [unrolled: 1-line block ×3, first 2 shown]
	s_cmp_eq_u32 s4, 0
	s_cselect_b32 s4, ttmp9, s5
	s_delay_alu instid0(SALU_CYCLE_1) | instskip(NEXT) | instid1(VALU_DEP_1)
	v_lshl_or_b32 v4, s4, 8, v0
	v_mul_u64_e32 v[0:1], s[8:9], v[4:5]
	v_mul_u64_e32 v[2:3], s[6:7], v[4:5]
	s_clause 0x1
	s_load_b256 s[4:11], s[0:1], 0x8
	s_load_b128 s[12:15], s[0:1], 0x38
	v_cmp_gt_i64_e32 vcc_lo, s[18:19], v[4:5]
	s_wait_kmcnt 0x0
	s_lshl_b64 s[0:1], s[10:11], 1
	s_lshl_b64 s[10:11], s[14:15], 1
	s_branch .LBB196_3
.LBB196_2:                              ;   in Loop: Header=BB196_3 Depth=1
	s_wait_xcnt 0x0
	s_or_b32 exec_lo, exec_lo, s15
	s_add_co_i32 s2, s2, 0x10000
	s_delay_alu instid0(SALU_CYCLE_1)
	s_cmp_lt_u32 s2, s16
	s_cbranch_scc0 .LBB196_5
.LBB196_3:                              ; =>This Inner Loop Header: Depth=1
	s_mul_u64 s[14:15], s[6:7], s[2:3]
	s_delay_alu instid0(SALU_CYCLE_1) | instskip(NEXT) | instid1(SALU_CYCLE_1)
	s_lshl_b64 s[14:15], s[14:15], 2
	s_add_nc_u64 s[14:15], s[4:5], s[14:15]
	s_load_b32 s14, s[14:15], 0x0
	s_wait_kmcnt 0x0
	s_cmp_neq_f32 s14, 0
	s_wait_xcnt 0x0
	s_cselect_b32 s15, -1, 0
	s_delay_alu instid0(SALU_CYCLE_1) | instskip(NEXT) | instid1(SALU_CYCLE_1)
	s_and_b32 s17, vcc_lo, s15
	s_and_saveexec_b32 s15, s17
	s_cbranch_execz .LBB196_2
; %bb.4:                                ;   in Loop: Header=BB196_3 Depth=1
	s_lshl_b64 s[18:19], s[2:3], 3
	s_delay_alu instid0(SALU_CYCLE_1)
	s_add_nc_u64 s[20:21], s[12:13], s[18:19]
	s_add_nc_u64 s[18:19], s[8:9], s[18:19]
	s_load_b64 s[22:23], s[20:21], 0x0
	s_load_b64 s[24:25], s[18:19], 0x0
	s_wait_kmcnt 0x0
	s_wait_xcnt 0x0
	s_add_nc_u64 s[18:19], s[22:23], s[10:11]
	s_add_nc_u64 s[20:21], s[24:25], s[0:1]
	s_delay_alu instid0(VALU_DEP_2) | instskip(NEXT) | instid1(VALU_DEP_4)
	v_lshl_add_u64 v[4:5], v[2:3], 1, s[18:19]
	v_lshl_add_u64 v[6:7], v[0:1], 1, s[20:21]
	flat_load_u16 v8, v[4:5]
	flat_load_u16 v9, v[6:7]
	s_wait_loadcnt_dscnt 0x0
	s_wait_xcnt 0x0
	v_fma_mixlo_f16 v6, s14, v9, v8 op_sel_hi:[0,1,1]
	flat_store_b16 v[4:5], v6
	s_branch .LBB196_2
.LBB196_5:
	s_endpgm
	.section	.rodata,"a",@progbits
	.p2align	6, 0x0
	.amdhsa_kernel _ZL19rocblas_axpy_kernelIiLi256EfPKfPKPKDF16_PKPDF16_EviT2_lT3_lT_lT4_lSB_li
		.amdhsa_group_segment_fixed_size 0
		.amdhsa_private_segment_fixed_size 0
		.amdhsa_kernarg_size 92
		.amdhsa_user_sgpr_count 2
		.amdhsa_user_sgpr_dispatch_ptr 0
		.amdhsa_user_sgpr_queue_ptr 0
		.amdhsa_user_sgpr_kernarg_segment_ptr 1
		.amdhsa_user_sgpr_dispatch_id 0
		.amdhsa_user_sgpr_kernarg_preload_length 0
		.amdhsa_user_sgpr_kernarg_preload_offset 0
		.amdhsa_user_sgpr_private_segment_size 0
		.amdhsa_wavefront_size32 1
		.amdhsa_uses_dynamic_stack 0
		.amdhsa_enable_private_segment 0
		.amdhsa_system_sgpr_workgroup_id_x 1
		.amdhsa_system_sgpr_workgroup_id_y 0
		.amdhsa_system_sgpr_workgroup_id_z 1
		.amdhsa_system_sgpr_workgroup_info 0
		.amdhsa_system_vgpr_workitem_id 0
		.amdhsa_next_free_vgpr 10
		.amdhsa_next_free_sgpr 26
		.amdhsa_named_barrier_count 0
		.amdhsa_reserve_vcc 1
		.amdhsa_float_round_mode_32 0
		.amdhsa_float_round_mode_16_64 0
		.amdhsa_float_denorm_mode_32 3
		.amdhsa_float_denorm_mode_16_64 3
		.amdhsa_fp16_overflow 0
		.amdhsa_memory_ordered 1
		.amdhsa_forward_progress 1
		.amdhsa_inst_pref_size 4
		.amdhsa_round_robin_scheduling 0
		.amdhsa_exception_fp_ieee_invalid_op 0
		.amdhsa_exception_fp_denorm_src 0
		.amdhsa_exception_fp_ieee_div_zero 0
		.amdhsa_exception_fp_ieee_overflow 0
		.amdhsa_exception_fp_ieee_underflow 0
		.amdhsa_exception_fp_ieee_inexact 0
		.amdhsa_exception_int_div_zero 0
	.end_amdhsa_kernel
	.section	.text._ZL19rocblas_axpy_kernelIiLi256EfPKfPKPKDF16_PKPDF16_EviT2_lT3_lT_lT4_lSB_li,"axG",@progbits,_ZL19rocblas_axpy_kernelIiLi256EfPKfPKPKDF16_PKPDF16_EviT2_lT3_lT_lT4_lSB_li,comdat
.Lfunc_end196:
	.size	_ZL19rocblas_axpy_kernelIiLi256EfPKfPKPKDF16_PKPDF16_EviT2_lT3_lT_lT4_lSB_li, .Lfunc_end196-_ZL19rocblas_axpy_kernelIiLi256EfPKfPKPKDF16_PKPDF16_EviT2_lT3_lT_lT4_lSB_li
                                        ; -- End function
	.set _ZL19rocblas_axpy_kernelIiLi256EfPKfPKPKDF16_PKPDF16_EviT2_lT3_lT_lT4_lSB_li.num_vgpr, 10
	.set _ZL19rocblas_axpy_kernelIiLi256EfPKfPKPKDF16_PKPDF16_EviT2_lT3_lT_lT4_lSB_li.num_agpr, 0
	.set _ZL19rocblas_axpy_kernelIiLi256EfPKfPKPKDF16_PKPDF16_EviT2_lT3_lT_lT4_lSB_li.numbered_sgpr, 26
	.set _ZL19rocblas_axpy_kernelIiLi256EfPKfPKPKDF16_PKPDF16_EviT2_lT3_lT_lT4_lSB_li.num_named_barrier, 0
	.set _ZL19rocblas_axpy_kernelIiLi256EfPKfPKPKDF16_PKPDF16_EviT2_lT3_lT_lT4_lSB_li.private_seg_size, 0
	.set _ZL19rocblas_axpy_kernelIiLi256EfPKfPKPKDF16_PKPDF16_EviT2_lT3_lT_lT4_lSB_li.uses_vcc, 1
	.set _ZL19rocblas_axpy_kernelIiLi256EfPKfPKPKDF16_PKPDF16_EviT2_lT3_lT_lT4_lSB_li.uses_flat_scratch, 0
	.set _ZL19rocblas_axpy_kernelIiLi256EfPKfPKPKDF16_PKPDF16_EviT2_lT3_lT_lT4_lSB_li.has_dyn_sized_stack, 0
	.set _ZL19rocblas_axpy_kernelIiLi256EfPKfPKPKDF16_PKPDF16_EviT2_lT3_lT_lT4_lSB_li.has_recursion, 0
	.set _ZL19rocblas_axpy_kernelIiLi256EfPKfPKPKDF16_PKPDF16_EviT2_lT3_lT_lT4_lSB_li.has_indirect_call, 0
	.section	.AMDGPU.csdata,"",@progbits
; Kernel info:
; codeLenInByte = 424
; TotalNumSgprs: 28
; NumVgprs: 10
; ScratchSize: 0
; MemoryBound: 0
; FloatMode: 240
; IeeeMode: 1
; LDSByteSize: 0 bytes/workgroup (compile time only)
; SGPRBlocks: 0
; VGPRBlocks: 0
; NumSGPRsForWavesPerEU: 28
; NumVGPRsForWavesPerEU: 10
; NamedBarCnt: 0
; Occupancy: 16
; WaveLimiterHint : 1
; COMPUTE_PGM_RSRC2:SCRATCH_EN: 0
; COMPUTE_PGM_RSRC2:USER_SGPR: 2
; COMPUTE_PGM_RSRC2:TRAP_HANDLER: 0
; COMPUTE_PGM_RSRC2:TGID_X_EN: 1
; COMPUTE_PGM_RSRC2:TGID_Y_EN: 0
; COMPUTE_PGM_RSRC2:TGID_Z_EN: 1
; COMPUTE_PGM_RSRC2:TIDIG_COMP_CNT: 0
	.section	.text._ZL19rocblas_axpy_kernelIiLi256EffPKPKDF16_PKPDF16_EviT2_lT3_lT_lT4_lS9_li,"axG",@progbits,_ZL19rocblas_axpy_kernelIiLi256EffPKPKDF16_PKPDF16_EviT2_lT3_lT_lT4_lS9_li,comdat
	.globl	_ZL19rocblas_axpy_kernelIiLi256EffPKPKDF16_PKPDF16_EviT2_lT3_lT_lT4_lS9_li ; -- Begin function _ZL19rocblas_axpy_kernelIiLi256EffPKPKDF16_PKPDF16_EviT2_lT3_lT_lT4_lS9_li
	.p2align	8
	.type	_ZL19rocblas_axpy_kernelIiLi256EffPKPKDF16_PKPDF16_EviT2_lT3_lT_lT4_lS9_li,@function
_ZL19rocblas_axpy_kernelIiLi256EffPKPKDF16_PKPDF16_EviT2_lT3_lT_lT4_lS9_li: ; @_ZL19rocblas_axpy_kernelIiLi256EffPKPKDF16_PKPDF16_EviT2_lT3_lT_lT4_lS9_li
; %bb.0:
	s_load_b32 s12, s[0:1], 0x50
	s_bfe_u32 s2, ttmp6, 0x40014
	s_lshr_b32 s3, ttmp7, 16
	s_add_co_i32 s2, s2, 1
	s_bfe_u32 s5, ttmp6, 0x40008
	s_mul_i32 s4, s3, s2
	s_getreg_b32 s2, hwreg(HW_REG_IB_STS2, 6, 4)
	s_add_co_i32 s5, s5, s4
	s_cmp_eq_u32 s2, 0
	s_cselect_b32 s13, s3, s5
	s_wait_kmcnt 0x0
	s_cmp_ge_u32 s13, s12
	s_cbranch_scc1 .LBB197_5
; %bb.1:
	s_clause 0x1
	s_load_b32 s4, s[0:1], 0x40
	s_load_b32 s6, s[0:1], 0x20
	s_bfe_u32 s3, ttmp6, 0x4000c
	s_and_b32 s5, ttmp6, 15
	s_add_co_i32 s3, s3, 1
	v_mov_b32_e32 v5, 0
	s_mul_i32 s3, ttmp9, s3
	s_delay_alu instid0(SALU_CYCLE_1)
	s_add_co_i32 s8, s5, s3
	s_wait_kmcnt 0x0
	s_ashr_i32 s5, s4, 31
	s_ashr_i32 s7, s6, 31
	s_cmp_eq_u32 s2, 0
	s_load_b64 s[2:3], s[0:1], 0x0
	s_cselect_b32 s8, ttmp9, s8
	s_delay_alu instid0(SALU_CYCLE_1) | instskip(NEXT) | instid1(VALU_DEP_1)
	v_lshl_or_b32 v4, s8, 8, v0
	v_mul_u64_e32 v[0:1], s[6:7], v[4:5]
	v_mul_u64_e32 v[2:3], s[4:5], v[4:5]
	s_clause 0x1
	s_load_b128 s[4:7], s[0:1], 0x10
	s_load_b128 s[8:11], s[0:1], 0x30
	s_wait_kmcnt 0x0
	s_cmp_neq_f32 s3, 0
	s_mov_b32 s0, s2
	s_cselect_b32 s14, -1, 0
	s_ashr_i32 s1, s2, 31
	s_delay_alu instid0(SALU_CYCLE_1)
	v_cmp_gt_i64_e32 vcc_lo, s[0:1], v[4:5]
	s_lshl_b64 s[0:1], s[6:7], 1
	s_lshl_b64 s[6:7], s[10:11], 1
	s_and_b32 s2, s14, vcc_lo
	s_branch .LBB197_3
.LBB197_2:                              ;   in Loop: Header=BB197_3 Depth=1
	s_wait_xcnt 0x0
	s_or_b32 exec_lo, exec_lo, s10
	s_add_co_i32 s13, s13, 0x10000
	s_delay_alu instid0(SALU_CYCLE_1)
	s_cmp_lt_u32 s13, s12
	s_cbranch_scc0 .LBB197_5
.LBB197_3:                              ; =>This Inner Loop Header: Depth=1
	s_and_saveexec_b32 s10, s2
	s_cbranch_execz .LBB197_2
; %bb.4:                                ;   in Loop: Header=BB197_3 Depth=1
	s_load_b64 s[14:15], s[8:9], s13 offset:0x0 scale_offset
	s_load_b64 s[16:17], s[4:5], s13 offset:0x0 scale_offset
	s_wait_kmcnt 0x0
	s_add_nc_u64 s[14:15], s[14:15], s[6:7]
	s_add_nc_u64 s[16:17], s[16:17], s[0:1]
	s_delay_alu instid0(VALU_DEP_2) | instskip(NEXT) | instid1(VALU_DEP_4)
	v_lshl_add_u64 v[4:5], v[2:3], 1, s[14:15]
	v_lshl_add_u64 v[6:7], v[0:1], 1, s[16:17]
	flat_load_u16 v8, v[4:5]
	flat_load_u16 v9, v[6:7]
	s_wait_loadcnt_dscnt 0x0
	s_wait_xcnt 0x0
	v_fma_mixlo_f16 v6, s3, v9, v8 op_sel_hi:[0,1,1]
	flat_store_b16 v[4:5], v6
	s_branch .LBB197_2
.LBB197_5:
	s_endpgm
	.section	.rodata,"a",@progbits
	.p2align	6, 0x0
	.amdhsa_kernel _ZL19rocblas_axpy_kernelIiLi256EffPKPKDF16_PKPDF16_EviT2_lT3_lT_lT4_lS9_li
		.amdhsa_group_segment_fixed_size 0
		.amdhsa_private_segment_fixed_size 0
		.amdhsa_kernarg_size 84
		.amdhsa_user_sgpr_count 2
		.amdhsa_user_sgpr_dispatch_ptr 0
		.amdhsa_user_sgpr_queue_ptr 0
		.amdhsa_user_sgpr_kernarg_segment_ptr 1
		.amdhsa_user_sgpr_dispatch_id 0
		.amdhsa_user_sgpr_kernarg_preload_length 0
		.amdhsa_user_sgpr_kernarg_preload_offset 0
		.amdhsa_user_sgpr_private_segment_size 0
		.amdhsa_wavefront_size32 1
		.amdhsa_uses_dynamic_stack 0
		.amdhsa_enable_private_segment 0
		.amdhsa_system_sgpr_workgroup_id_x 1
		.amdhsa_system_sgpr_workgroup_id_y 0
		.amdhsa_system_sgpr_workgroup_id_z 1
		.amdhsa_system_sgpr_workgroup_info 0
		.amdhsa_system_vgpr_workitem_id 0
		.amdhsa_next_free_vgpr 10
		.amdhsa_next_free_sgpr 18
		.amdhsa_named_barrier_count 0
		.amdhsa_reserve_vcc 1
		.amdhsa_float_round_mode_32 0
		.amdhsa_float_round_mode_16_64 0
		.amdhsa_float_denorm_mode_32 3
		.amdhsa_float_denorm_mode_16_64 3
		.amdhsa_fp16_overflow 0
		.amdhsa_memory_ordered 1
		.amdhsa_forward_progress 1
		.amdhsa_inst_pref_size 3
		.amdhsa_round_robin_scheduling 0
		.amdhsa_exception_fp_ieee_invalid_op 0
		.amdhsa_exception_fp_denorm_src 0
		.amdhsa_exception_fp_ieee_div_zero 0
		.amdhsa_exception_fp_ieee_overflow 0
		.amdhsa_exception_fp_ieee_underflow 0
		.amdhsa_exception_fp_ieee_inexact 0
		.amdhsa_exception_int_div_zero 0
	.end_amdhsa_kernel
	.section	.text._ZL19rocblas_axpy_kernelIiLi256EffPKPKDF16_PKPDF16_EviT2_lT3_lT_lT4_lS9_li,"axG",@progbits,_ZL19rocblas_axpy_kernelIiLi256EffPKPKDF16_PKPDF16_EviT2_lT3_lT_lT4_lS9_li,comdat
.Lfunc_end197:
	.size	_ZL19rocblas_axpy_kernelIiLi256EffPKPKDF16_PKPDF16_EviT2_lT3_lT_lT4_lS9_li, .Lfunc_end197-_ZL19rocblas_axpy_kernelIiLi256EffPKPKDF16_PKPDF16_EviT2_lT3_lT_lT4_lS9_li
                                        ; -- End function
	.set _ZL19rocblas_axpy_kernelIiLi256EffPKPKDF16_PKPDF16_EviT2_lT3_lT_lT4_lS9_li.num_vgpr, 10
	.set _ZL19rocblas_axpy_kernelIiLi256EffPKPKDF16_PKPDF16_EviT2_lT3_lT_lT4_lS9_li.num_agpr, 0
	.set _ZL19rocblas_axpy_kernelIiLi256EffPKPKDF16_PKPDF16_EviT2_lT3_lT_lT4_lS9_li.numbered_sgpr, 18
	.set _ZL19rocblas_axpy_kernelIiLi256EffPKPKDF16_PKPDF16_EviT2_lT3_lT_lT4_lS9_li.num_named_barrier, 0
	.set _ZL19rocblas_axpy_kernelIiLi256EffPKPKDF16_PKPDF16_EviT2_lT3_lT_lT4_lS9_li.private_seg_size, 0
	.set _ZL19rocblas_axpy_kernelIiLi256EffPKPKDF16_PKPDF16_EviT2_lT3_lT_lT4_lS9_li.uses_vcc, 1
	.set _ZL19rocblas_axpy_kernelIiLi256EffPKPKDF16_PKPDF16_EviT2_lT3_lT_lT4_lS9_li.uses_flat_scratch, 0
	.set _ZL19rocblas_axpy_kernelIiLi256EffPKPKDF16_PKPDF16_EviT2_lT3_lT_lT4_lS9_li.has_dyn_sized_stack, 0
	.set _ZL19rocblas_axpy_kernelIiLi256EffPKPKDF16_PKPDF16_EviT2_lT3_lT_lT4_lS9_li.has_recursion, 0
	.set _ZL19rocblas_axpy_kernelIiLi256EffPKPKDF16_PKPDF16_EviT2_lT3_lT_lT4_lS9_li.has_indirect_call, 0
	.section	.AMDGPU.csdata,"",@progbits
; Kernel info:
; codeLenInByte = 372
; TotalNumSgprs: 20
; NumVgprs: 10
; ScratchSize: 0
; MemoryBound: 0
; FloatMode: 240
; IeeeMode: 1
; LDSByteSize: 0 bytes/workgroup (compile time only)
; SGPRBlocks: 0
; VGPRBlocks: 0
; NumSGPRsForWavesPerEU: 20
; NumVGPRsForWavesPerEU: 10
; NamedBarCnt: 0
; Occupancy: 16
; WaveLimiterHint : 1
; COMPUTE_PGM_RSRC2:SCRATCH_EN: 0
; COMPUTE_PGM_RSRC2:USER_SGPR: 2
; COMPUTE_PGM_RSRC2:TRAP_HANDLER: 0
; COMPUTE_PGM_RSRC2:TGID_X_EN: 1
; COMPUTE_PGM_RSRC2:TGID_Y_EN: 0
; COMPUTE_PGM_RSRC2:TGID_Z_EN: 1
; COMPUTE_PGM_RSRC2:TIDIG_COMP_CNT: 0
	.section	.text._ZL19rocblas_axpy_kernelIlLi256EfPKfPKPKDF16_PKPDF16_EviT2_lT3_lT_lT4_lSB_li,"axG",@progbits,_ZL19rocblas_axpy_kernelIlLi256EfPKfPKPKDF16_PKPDF16_EviT2_lT3_lT_lT4_lSB_li,comdat
	.globl	_ZL19rocblas_axpy_kernelIlLi256EfPKfPKPKDF16_PKPDF16_EviT2_lT3_lT_lT4_lSB_li ; -- Begin function _ZL19rocblas_axpy_kernelIlLi256EfPKfPKPKDF16_PKPDF16_EviT2_lT3_lT_lT4_lSB_li
	.p2align	8
	.type	_ZL19rocblas_axpy_kernelIlLi256EfPKfPKPKDF16_PKPDF16_EviT2_lT3_lT_lT4_lSB_li,@function
_ZL19rocblas_axpy_kernelIlLi256EfPKfPKPKDF16_PKPDF16_EviT2_lT3_lT_lT4_lSB_li: ; @_ZL19rocblas_axpy_kernelIlLi256EfPKfPKPKDF16_PKPDF16_EviT2_lT3_lT_lT4_lSB_li
; %bb.0:
	s_load_b32 s14, s[0:1], 0x58
	s_bfe_u32 s2, ttmp6, 0x40014
	s_lshr_b32 s3, ttmp7, 16
	s_add_co_i32 s2, s2, 1
	s_bfe_u32 s4, ttmp6, 0x40008
	s_mul_i32 s2, s3, s2
	s_getreg_b32 s8, hwreg(HW_REG_IB_STS2, 6, 4)
	s_add_co_i32 s4, s4, s2
	s_cmp_eq_u32 s8, 0
	s_cselect_b32 s2, s3, s4
	s_mov_b32 s3, 0
	s_wait_kmcnt 0x0
	s_cmp_ge_u32 s2, s14
	s_cbranch_scc1 .LBB198_5
; %bb.1:
	s_clause 0x2
	s_load_b32 s12, s[0:1], 0x0
	s_load_b128 s[16:19], s[0:1], 0x20
	s_load_b128 s[20:23], s[0:1], 0x40
	s_bfe_u32 s4, ttmp6, 0x4000c
	s_and_b32 s9, ttmp6, 15
	s_add_co_i32 s4, s4, 1
	v_mov_b32_e32 v5, 0
	s_mul_i32 s10, ttmp9, s4
	s_load_b128 s[4:7], s[0:1], 0x8
	s_add_co_i32 s9, s9, s10
	s_wait_kmcnt 0x0
	s_ashr_i32 s13, s12, 31
	s_cmp_eq_u32 s8, 0
	s_cselect_b32 s8, ttmp9, s9
	s_delay_alu instid0(SALU_CYCLE_1)
	v_lshl_or_b32 v4, s8, 8, v0
	s_clause 0x1
	s_load_b64 s[8:9], s[0:1], 0x18
	s_load_b64 s[10:11], s[0:1], 0x38
	s_wait_xcnt 0x0
	s_lshl_b64 s[0:1], s[16:17], 1
	v_mul_u64_e32 v[0:1], s[18:19], v[4:5]
	v_mul_u64_e32 v[2:3], s[22:23], v[4:5]
	v_cmp_gt_i64_e32 vcc_lo, s[12:13], v[4:5]
	s_lshl_b64 s[12:13], s[20:21], 1
	s_branch .LBB198_3
.LBB198_2:                              ;   in Loop: Header=BB198_3 Depth=1
	s_wait_xcnt 0x0
	s_or_b32 exec_lo, exec_lo, s16
	s_add_co_i32 s2, s2, 0x10000
	s_delay_alu instid0(SALU_CYCLE_1)
	s_cmp_lt_u32 s2, s14
	s_cbranch_scc0 .LBB198_5
.LBB198_3:                              ; =>This Inner Loop Header: Depth=1
	s_mul_u64 s[16:17], s[6:7], s[2:3]
	s_delay_alu instid0(SALU_CYCLE_1) | instskip(NEXT) | instid1(SALU_CYCLE_1)
	s_lshl_b64 s[16:17], s[16:17], 2
	s_add_nc_u64 s[16:17], s[4:5], s[16:17]
	s_load_b32 s15, s[16:17], 0x0
	s_wait_kmcnt 0x0
	s_cmp_neq_f32 s15, 0
	s_wait_xcnt 0x0
	s_cselect_b32 s16, -1, 0
	s_delay_alu instid0(SALU_CYCLE_1) | instskip(NEXT) | instid1(SALU_CYCLE_1)
	s_and_b32 s17, vcc_lo, s16
	s_and_saveexec_b32 s16, s17
	s_cbranch_execz .LBB198_2
; %bb.4:                                ;   in Loop: Header=BB198_3 Depth=1
	s_lshl_b64 s[18:19], s[2:3], 3
	s_delay_alu instid0(SALU_CYCLE_1)
	s_add_nc_u64 s[20:21], s[10:11], s[18:19]
	s_add_nc_u64 s[18:19], s[8:9], s[18:19]
	s_load_b64 s[22:23], s[20:21], 0x0
	s_load_b64 s[24:25], s[18:19], 0x0
	s_wait_kmcnt 0x0
	s_wait_xcnt 0x0
	s_add_nc_u64 s[18:19], s[22:23], s[12:13]
	s_add_nc_u64 s[20:21], s[24:25], s[0:1]
	s_delay_alu instid0(VALU_DEP_2) | instskip(NEXT) | instid1(VALU_DEP_4)
	v_lshl_add_u64 v[4:5], v[2:3], 1, s[18:19]
	v_lshl_add_u64 v[6:7], v[0:1], 1, s[20:21]
	flat_load_u16 v8, v[4:5]
	flat_load_u16 v9, v[6:7]
	s_wait_loadcnt_dscnt 0x0
	s_wait_xcnt 0x0
	v_fma_mixlo_f16 v6, s15, v9, v8 op_sel_hi:[0,1,1]
	flat_store_b16 v[4:5], v6
	s_branch .LBB198_2
.LBB198_5:
	s_endpgm
	.section	.rodata,"a",@progbits
	.p2align	6, 0x0
	.amdhsa_kernel _ZL19rocblas_axpy_kernelIlLi256EfPKfPKPKDF16_PKPDF16_EviT2_lT3_lT_lT4_lSB_li
		.amdhsa_group_segment_fixed_size 0
		.amdhsa_private_segment_fixed_size 0
		.amdhsa_kernarg_size 92
		.amdhsa_user_sgpr_count 2
		.amdhsa_user_sgpr_dispatch_ptr 0
		.amdhsa_user_sgpr_queue_ptr 0
		.amdhsa_user_sgpr_kernarg_segment_ptr 1
		.amdhsa_user_sgpr_dispatch_id 0
		.amdhsa_user_sgpr_kernarg_preload_length 0
		.amdhsa_user_sgpr_kernarg_preload_offset 0
		.amdhsa_user_sgpr_private_segment_size 0
		.amdhsa_wavefront_size32 1
		.amdhsa_uses_dynamic_stack 0
		.amdhsa_enable_private_segment 0
		.amdhsa_system_sgpr_workgroup_id_x 1
		.amdhsa_system_sgpr_workgroup_id_y 0
		.amdhsa_system_sgpr_workgroup_id_z 1
		.amdhsa_system_sgpr_workgroup_info 0
		.amdhsa_system_vgpr_workitem_id 0
		.amdhsa_next_free_vgpr 10
		.amdhsa_next_free_sgpr 26
		.amdhsa_named_barrier_count 0
		.amdhsa_reserve_vcc 1
		.amdhsa_float_round_mode_32 0
		.amdhsa_float_round_mode_16_64 0
		.amdhsa_float_denorm_mode_32 3
		.amdhsa_float_denorm_mode_16_64 3
		.amdhsa_fp16_overflow 0
		.amdhsa_memory_ordered 1
		.amdhsa_forward_progress 1
		.amdhsa_inst_pref_size 4
		.amdhsa_round_robin_scheduling 0
		.amdhsa_exception_fp_ieee_invalid_op 0
		.amdhsa_exception_fp_denorm_src 0
		.amdhsa_exception_fp_ieee_div_zero 0
		.amdhsa_exception_fp_ieee_overflow 0
		.amdhsa_exception_fp_ieee_underflow 0
		.amdhsa_exception_fp_ieee_inexact 0
		.amdhsa_exception_int_div_zero 0
	.end_amdhsa_kernel
	.section	.text._ZL19rocblas_axpy_kernelIlLi256EfPKfPKPKDF16_PKPDF16_EviT2_lT3_lT_lT4_lSB_li,"axG",@progbits,_ZL19rocblas_axpy_kernelIlLi256EfPKfPKPKDF16_PKPDF16_EviT2_lT3_lT_lT4_lSB_li,comdat
.Lfunc_end198:
	.size	_ZL19rocblas_axpy_kernelIlLi256EfPKfPKPKDF16_PKPDF16_EviT2_lT3_lT_lT4_lSB_li, .Lfunc_end198-_ZL19rocblas_axpy_kernelIlLi256EfPKfPKPKDF16_PKPDF16_EviT2_lT3_lT_lT4_lSB_li
                                        ; -- End function
	.set _ZL19rocblas_axpy_kernelIlLi256EfPKfPKPKDF16_PKPDF16_EviT2_lT3_lT_lT4_lSB_li.num_vgpr, 10
	.set _ZL19rocblas_axpy_kernelIlLi256EfPKfPKPKDF16_PKPDF16_EviT2_lT3_lT_lT4_lSB_li.num_agpr, 0
	.set _ZL19rocblas_axpy_kernelIlLi256EfPKfPKPKDF16_PKPDF16_EviT2_lT3_lT_lT4_lSB_li.numbered_sgpr, 26
	.set _ZL19rocblas_axpy_kernelIlLi256EfPKfPKPKDF16_PKPDF16_EviT2_lT3_lT_lT4_lSB_li.num_named_barrier, 0
	.set _ZL19rocblas_axpy_kernelIlLi256EfPKfPKPKDF16_PKPDF16_EviT2_lT3_lT_lT4_lSB_li.private_seg_size, 0
	.set _ZL19rocblas_axpy_kernelIlLi256EfPKfPKPKDF16_PKPDF16_EviT2_lT3_lT_lT4_lSB_li.uses_vcc, 1
	.set _ZL19rocblas_axpy_kernelIlLi256EfPKfPKPKDF16_PKPDF16_EviT2_lT3_lT_lT4_lSB_li.uses_flat_scratch, 0
	.set _ZL19rocblas_axpy_kernelIlLi256EfPKfPKPKDF16_PKPDF16_EviT2_lT3_lT_lT4_lSB_li.has_dyn_sized_stack, 0
	.set _ZL19rocblas_axpy_kernelIlLi256EfPKfPKPKDF16_PKPDF16_EviT2_lT3_lT_lT4_lSB_li.has_recursion, 0
	.set _ZL19rocblas_axpy_kernelIlLi256EfPKfPKPKDF16_PKPDF16_EviT2_lT3_lT_lT4_lSB_li.has_indirect_call, 0
	.section	.AMDGPU.csdata,"",@progbits
; Kernel info:
; codeLenInByte = 420
; TotalNumSgprs: 28
; NumVgprs: 10
; ScratchSize: 0
; MemoryBound: 0
; FloatMode: 240
; IeeeMode: 1
; LDSByteSize: 0 bytes/workgroup (compile time only)
; SGPRBlocks: 0
; VGPRBlocks: 0
; NumSGPRsForWavesPerEU: 28
; NumVGPRsForWavesPerEU: 10
; NamedBarCnt: 0
; Occupancy: 16
; WaveLimiterHint : 1
; COMPUTE_PGM_RSRC2:SCRATCH_EN: 0
; COMPUTE_PGM_RSRC2:USER_SGPR: 2
; COMPUTE_PGM_RSRC2:TRAP_HANDLER: 0
; COMPUTE_PGM_RSRC2:TGID_X_EN: 1
; COMPUTE_PGM_RSRC2:TGID_Y_EN: 0
; COMPUTE_PGM_RSRC2:TGID_Z_EN: 1
; COMPUTE_PGM_RSRC2:TIDIG_COMP_CNT: 0
	.section	.text._ZL19rocblas_axpy_kernelIlLi256EffPKPKDF16_PKPDF16_EviT2_lT3_lT_lT4_lS9_li,"axG",@progbits,_ZL19rocblas_axpy_kernelIlLi256EffPKPKDF16_PKPDF16_EviT2_lT3_lT_lT4_lS9_li,comdat
	.globl	_ZL19rocblas_axpy_kernelIlLi256EffPKPKDF16_PKPDF16_EviT2_lT3_lT_lT4_lS9_li ; -- Begin function _ZL19rocblas_axpy_kernelIlLi256EffPKPKDF16_PKPDF16_EviT2_lT3_lT_lT4_lS9_li
	.p2align	8
	.type	_ZL19rocblas_axpy_kernelIlLi256EffPKPKDF16_PKPDF16_EviT2_lT3_lT_lT4_lS9_li,@function
_ZL19rocblas_axpy_kernelIlLi256EffPKPKDF16_PKPDF16_EviT2_lT3_lT_lT4_lS9_li: ; @_ZL19rocblas_axpy_kernelIlLi256EffPKPKDF16_PKPDF16_EviT2_lT3_lT_lT4_lS9_li
; %bb.0:
	s_load_b32 s10, s[0:1], 0x50
	s_bfe_u32 s2, ttmp6, 0x40014
	s_lshr_b32 s3, ttmp7, 16
	s_add_co_i32 s2, s2, 1
	s_bfe_u32 s5, ttmp6, 0x40008
	s_mul_i32 s4, s3, s2
	s_getreg_b32 s2, hwreg(HW_REG_IB_STS2, 6, 4)
	s_add_co_i32 s5, s5, s4
	s_cmp_eq_u32 s2, 0
	s_cselect_b32 s11, s3, s5
	s_wait_kmcnt 0x0
	s_cmp_ge_u32 s11, s10
	s_cbranch_scc1 .LBB199_5
; %bb.1:
	s_clause 0x1
	s_load_b128 s[12:15], s[0:1], 0x18
	s_load_b128 s[16:19], s[0:1], 0x38
	s_bfe_u32 s3, ttmp6, 0x4000c
	s_and_b32 s4, ttmp6, 15
	s_add_co_i32 s3, s3, 1
	v_mov_b32_e32 v5, 0
	s_mul_i32 s3, ttmp9, s3
	s_delay_alu instid0(SALU_CYCLE_1) | instskip(SKIP_3) | instid1(SALU_CYCLE_1)
	s_add_co_i32 s4, s4, s3
	s_cmp_eq_u32 s2, 0
	s_load_b64 s[2:3], s[0:1], 0x0
	s_cselect_b32 s4, ttmp9, s4
	v_lshl_or_b32 v4, s4, 8, v0
	s_clause 0x1
	s_load_b64 s[4:5], s[0:1], 0x10
	s_load_b64 s[6:7], s[0:1], 0x30
	s_wait_kmcnt 0x0
	v_mul_u64_e32 v[0:1], s[14:15], v[4:5]
	v_mul_u64_e32 v[2:3], s[18:19], v[4:5]
	s_cmp_neq_f32 s3, 0
	s_mov_b32 s0, s2
	s_cselect_b32 s8, -1, 0
	s_ashr_i32 s1, s2, 31
	s_delay_alu instid0(SALU_CYCLE_1)
	v_cmp_gt_i64_e32 vcc_lo, s[0:1], v[4:5]
	s_lshl_b64 s[0:1], s[12:13], 1
	s_and_b32 s2, s8, vcc_lo
	s_lshl_b64 s[8:9], s[16:17], 1
	s_branch .LBB199_3
.LBB199_2:                              ;   in Loop: Header=BB199_3 Depth=1
	s_wait_xcnt 0x0
	s_or_b32 exec_lo, exec_lo, s12
	s_add_co_i32 s11, s11, 0x10000
	s_delay_alu instid0(SALU_CYCLE_1)
	s_cmp_lt_u32 s11, s10
	s_cbranch_scc0 .LBB199_5
.LBB199_3:                              ; =>This Inner Loop Header: Depth=1
	s_and_saveexec_b32 s12, s2
	s_cbranch_execz .LBB199_2
; %bb.4:                                ;   in Loop: Header=BB199_3 Depth=1
	s_load_b64 s[14:15], s[6:7], s11 offset:0x0 scale_offset
	s_load_b64 s[16:17], s[4:5], s11 offset:0x0 scale_offset
	s_wait_kmcnt 0x0
	s_add_nc_u64 s[14:15], s[14:15], s[8:9]
	s_add_nc_u64 s[16:17], s[16:17], s[0:1]
	s_delay_alu instid0(VALU_DEP_2) | instskip(NEXT) | instid1(VALU_DEP_4)
	v_lshl_add_u64 v[4:5], v[2:3], 1, s[14:15]
	v_lshl_add_u64 v[6:7], v[0:1], 1, s[16:17]
	flat_load_u16 v8, v[4:5]
	flat_load_u16 v9, v[6:7]
	s_wait_loadcnt_dscnt 0x0
	s_wait_xcnt 0x0
	v_fma_mixlo_f16 v6, s3, v9, v8 op_sel_hi:[0,1,1]
	flat_store_b16 v[4:5], v6
	s_branch .LBB199_2
.LBB199_5:
	s_endpgm
	.section	.rodata,"a",@progbits
	.p2align	6, 0x0
	.amdhsa_kernel _ZL19rocblas_axpy_kernelIlLi256EffPKPKDF16_PKPDF16_EviT2_lT3_lT_lT4_lS9_li
		.amdhsa_group_segment_fixed_size 0
		.amdhsa_private_segment_fixed_size 0
		.amdhsa_kernarg_size 84
		.amdhsa_user_sgpr_count 2
		.amdhsa_user_sgpr_dispatch_ptr 0
		.amdhsa_user_sgpr_queue_ptr 0
		.amdhsa_user_sgpr_kernarg_segment_ptr 1
		.amdhsa_user_sgpr_dispatch_id 0
		.amdhsa_user_sgpr_kernarg_preload_length 0
		.amdhsa_user_sgpr_kernarg_preload_offset 0
		.amdhsa_user_sgpr_private_segment_size 0
		.amdhsa_wavefront_size32 1
		.amdhsa_uses_dynamic_stack 0
		.amdhsa_enable_private_segment 0
		.amdhsa_system_sgpr_workgroup_id_x 1
		.amdhsa_system_sgpr_workgroup_id_y 0
		.amdhsa_system_sgpr_workgroup_id_z 1
		.amdhsa_system_sgpr_workgroup_info 0
		.amdhsa_system_vgpr_workitem_id 0
		.amdhsa_next_free_vgpr 10
		.amdhsa_next_free_sgpr 20
		.amdhsa_named_barrier_count 0
		.amdhsa_reserve_vcc 1
		.amdhsa_float_round_mode_32 0
		.amdhsa_float_round_mode_16_64 0
		.amdhsa_float_denorm_mode_32 3
		.amdhsa_float_denorm_mode_16_64 3
		.amdhsa_fp16_overflow 0
		.amdhsa_memory_ordered 1
		.amdhsa_forward_progress 1
		.amdhsa_inst_pref_size 3
		.amdhsa_round_robin_scheduling 0
		.amdhsa_exception_fp_ieee_invalid_op 0
		.amdhsa_exception_fp_denorm_src 0
		.amdhsa_exception_fp_ieee_div_zero 0
		.amdhsa_exception_fp_ieee_overflow 0
		.amdhsa_exception_fp_ieee_underflow 0
		.amdhsa_exception_fp_ieee_inexact 0
		.amdhsa_exception_int_div_zero 0
	.end_amdhsa_kernel
	.section	.text._ZL19rocblas_axpy_kernelIlLi256EffPKPKDF16_PKPDF16_EviT2_lT3_lT_lT4_lS9_li,"axG",@progbits,_ZL19rocblas_axpy_kernelIlLi256EffPKPKDF16_PKPDF16_EviT2_lT3_lT_lT4_lS9_li,comdat
.Lfunc_end199:
	.size	_ZL19rocblas_axpy_kernelIlLi256EffPKPKDF16_PKPDF16_EviT2_lT3_lT_lT4_lS9_li, .Lfunc_end199-_ZL19rocblas_axpy_kernelIlLi256EffPKPKDF16_PKPDF16_EviT2_lT3_lT_lT4_lS9_li
                                        ; -- End function
	.set _ZL19rocblas_axpy_kernelIlLi256EffPKPKDF16_PKPDF16_EviT2_lT3_lT_lT4_lS9_li.num_vgpr, 10
	.set _ZL19rocblas_axpy_kernelIlLi256EffPKPKDF16_PKPDF16_EviT2_lT3_lT_lT4_lS9_li.num_agpr, 0
	.set _ZL19rocblas_axpy_kernelIlLi256EffPKPKDF16_PKPDF16_EviT2_lT3_lT_lT4_lS9_li.numbered_sgpr, 20
	.set _ZL19rocblas_axpy_kernelIlLi256EffPKPKDF16_PKPDF16_EviT2_lT3_lT_lT4_lS9_li.num_named_barrier, 0
	.set _ZL19rocblas_axpy_kernelIlLi256EffPKPKDF16_PKPDF16_EviT2_lT3_lT_lT4_lS9_li.private_seg_size, 0
	.set _ZL19rocblas_axpy_kernelIlLi256EffPKPKDF16_PKPDF16_EviT2_lT3_lT_lT4_lS9_li.uses_vcc, 1
	.set _ZL19rocblas_axpy_kernelIlLi256EffPKPKDF16_PKPDF16_EviT2_lT3_lT_lT4_lS9_li.uses_flat_scratch, 0
	.set _ZL19rocblas_axpy_kernelIlLi256EffPKPKDF16_PKPDF16_EviT2_lT3_lT_lT4_lS9_li.has_dyn_sized_stack, 0
	.set _ZL19rocblas_axpy_kernelIlLi256EffPKPKDF16_PKPDF16_EviT2_lT3_lT_lT4_lS9_li.has_recursion, 0
	.set _ZL19rocblas_axpy_kernelIlLi256EffPKPKDF16_PKPDF16_EviT2_lT3_lT_lT4_lS9_li.has_indirect_call, 0
	.section	.AMDGPU.csdata,"",@progbits
; Kernel info:
; codeLenInByte = 356
; TotalNumSgprs: 22
; NumVgprs: 10
; ScratchSize: 0
; MemoryBound: 0
; FloatMode: 240
; IeeeMode: 1
; LDSByteSize: 0 bytes/workgroup (compile time only)
; SGPRBlocks: 0
; VGPRBlocks: 0
; NumSGPRsForWavesPerEU: 22
; NumVGPRsForWavesPerEU: 10
; NamedBarCnt: 0
; Occupancy: 16
; WaveLimiterHint : 1
; COMPUTE_PGM_RSRC2:SCRATCH_EN: 0
; COMPUTE_PGM_RSRC2:USER_SGPR: 2
; COMPUTE_PGM_RSRC2:TRAP_HANDLER: 0
; COMPUTE_PGM_RSRC2:TGID_X_EN: 1
; COMPUTE_PGM_RSRC2:TGID_Y_EN: 0
; COMPUTE_PGM_RSRC2:TGID_Z_EN: 1
; COMPUTE_PGM_RSRC2:TIDIG_COMP_CNT: 0
	.section	.AMDGPU.gpr_maximums,"",@progbits
	.set amdgpu.max_num_vgpr, 0
	.set amdgpu.max_num_agpr, 0
	.set amdgpu.max_num_sgpr, 0
	.section	.AMDGPU.csdata,"",@progbits
	.type	__hip_cuid_2d0ffefc094e02bf,@object ; @__hip_cuid_2d0ffefc094e02bf
	.section	.bss,"aw",@nobits
	.globl	__hip_cuid_2d0ffefc094e02bf
__hip_cuid_2d0ffefc094e02bf:
	.byte	0                               ; 0x0
	.size	__hip_cuid_2d0ffefc094e02bf, 1

	.ident	"AMD clang version 22.0.0git (https://github.com/RadeonOpenCompute/llvm-project roc-7.2.4 26084 f58b06dce1f9c15707c5f808fd002e18c2accf7e)"
	.section	".note.GNU-stack","",@progbits
	.addrsig
	.addrsig_sym __hip_cuid_2d0ffefc094e02bf
	.amdgpu_metadata
---
amdhsa.kernels:
  - .args:
      - .offset:         0
        .size:           4
        .value_kind:     by_value
      - .address_space:  global
        .offset:         8
        .size:           8
        .value_kind:     global_buffer
      - .offset:         16
        .size:           8
        .value_kind:     by_value
      - .address_space:  global
        .offset:         24
        .size:           8
        .value_kind:     global_buffer
      - .offset:         32
        .size:           8
        .value_kind:     by_value
      - .offset:         40
        .size:           8
        .value_kind:     by_value
      - .address_space:  global
        .offset:         48
        .size:           8
        .value_kind:     global_buffer
      - .offset:         56
        .size:           8
        .value_kind:     by_value
      - .offset:         64
        .size:           8
        .value_kind:     by_value
      - .offset:         72
        .size:           4
        .value_kind:     by_value
    .group_segment_fixed_size: 0
    .kernarg_segment_align: 8
    .kernarg_segment_size: 76
    .language:       OpenCL C
    .language_version:
      - 2
      - 0
    .max_flat_workgroup_size: 256
    .name:           _ZL26rocblas_haxpy_mlt_8_kernelILi256EPKDF16_S1_PDF16_EviT0_lT1_llT2_lli
    .private_segment_fixed_size: 0
    .sgpr_count:     27
    .sgpr_spill_count: 0
    .symbol:         _ZL26rocblas_haxpy_mlt_8_kernelILi256EPKDF16_S1_PDF16_EviT0_lT1_llT2_lli.kd
    .uniform_work_group_size: 1
    .uses_dynamic_stack: false
    .vgpr_count:     18
    .vgpr_spill_count: 0
    .wavefront_size: 32
  - .args:
      - .offset:         0
        .size:           4
        .value_kind:     by_value
      - .address_space:  global
        .offset:         8
        .size:           8
        .value_kind:     global_buffer
      - .offset:         16
        .size:           8
        .value_kind:     by_value
      - .address_space:  global
        .offset:         24
        .size:           8
        .value_kind:     global_buffer
      - .offset:         32
        .size:           8
        .value_kind:     by_value
      - .offset:         40
        .size:           8
        .value_kind:     by_value
      - .address_space:  global
        .offset:         48
        .size:           8
        .value_kind:     global_buffer
      - .offset:         56
        .size:           8
        .value_kind:     by_value
      - .offset:         64
        .size:           8
        .value_kind:     by_value
      - .offset:         72
        .size:           4
        .value_kind:     by_value
    .group_segment_fixed_size: 0
    .kernarg_segment_align: 8
    .kernarg_segment_size: 76
    .language:       OpenCL C
    .language_version:
      - 2
      - 0
    .max_flat_workgroup_size: 256
    .name:           _ZL26rocblas_haxpy_mod_8_kernelILi256EPKDF16_S1_PDF16_EviT0_lT1_llT2_lli
    .private_segment_fixed_size: 0
    .sgpr_count:     26
    .sgpr_spill_count: 0
    .symbol:         _ZL26rocblas_haxpy_mod_8_kernelILi256EPKDF16_S1_PDF16_EviT0_lT1_llT2_lli.kd
    .uniform_work_group_size: 1
    .uses_dynamic_stack: false
    .vgpr_count:     12
    .vgpr_spill_count: 0
    .wavefront_size: 32
  - .args:
      - .offset:         0
        .size:           4
        .value_kind:     by_value
      - .offset:         4
        .size:           2
        .value_kind:     by_value
      - .offset:         8
        .size:           8
        .value_kind:     by_value
      - .address_space:  global
        .offset:         16
        .size:           8
        .value_kind:     global_buffer
      - .offset:         24
        .size:           8
        .value_kind:     by_value
      - .offset:         32
        .size:           8
        .value_kind:     by_value
      - .address_space:  global
        .offset:         40
        .size:           8
        .value_kind:     global_buffer
      - .offset:         48
        .size:           8
        .value_kind:     by_value
      - .offset:         56
        .size:           8
        .value_kind:     by_value
      - .offset:         64
        .size:           4
        .value_kind:     by_value
    .group_segment_fixed_size: 0
    .kernarg_segment_align: 8
    .kernarg_segment_size: 68
    .language:       OpenCL C
    .language_version:
      - 2
      - 0
    .max_flat_workgroup_size: 256
    .name:           _ZL26rocblas_haxpy_mlt_8_kernelILi256EDF16_PKDF16_PDF16_EviT0_lT1_llT2_lli
    .private_segment_fixed_size: 0
    .sgpr_count:     22
    .sgpr_spill_count: 0
    .symbol:         _ZL26rocblas_haxpy_mlt_8_kernelILi256EDF16_PKDF16_PDF16_EviT0_lT1_llT2_lli.kd
    .uniform_work_group_size: 1
    .uses_dynamic_stack: false
    .vgpr_count:     16
    .vgpr_spill_count: 0
    .wavefront_size: 32
  - .args:
      - .offset:         0
        .size:           4
        .value_kind:     by_value
      - .offset:         4
        .size:           2
        .value_kind:     by_value
      - .offset:         8
        .size:           8
        .value_kind:     by_value
      - .address_space:  global
        .offset:         16
        .size:           8
        .value_kind:     global_buffer
      - .offset:         24
        .size:           8
        .value_kind:     by_value
      - .offset:         32
        .size:           8
        .value_kind:     by_value
      - .address_space:  global
        .offset:         40
        .size:           8
        .value_kind:     global_buffer
      - .offset:         48
        .size:           8
        .value_kind:     by_value
      - .offset:         56
        .size:           8
        .value_kind:     by_value
      - .offset:         64
        .size:           4
        .value_kind:     by_value
    .group_segment_fixed_size: 0
    .kernarg_segment_align: 8
    .kernarg_segment_size: 68
    .language:       OpenCL C
    .language_version:
      - 2
      - 0
    .max_flat_workgroup_size: 256
    .name:           _ZL26rocblas_haxpy_mod_8_kernelILi256EDF16_PKDF16_PDF16_EviT0_lT1_llT2_lli
    .private_segment_fixed_size: 0
    .sgpr_count:     22
    .sgpr_spill_count: 0
    .symbol:         _ZL26rocblas_haxpy_mod_8_kernelILi256EDF16_PKDF16_PDF16_EviT0_lT1_llT2_lli.kd
    .uniform_work_group_size: 1
    .uses_dynamic_stack: false
    .vgpr_count:     10
    .vgpr_spill_count: 0
    .wavefront_size: 32
  - .args:
      - .offset:         0
        .size:           4
        .value_kind:     by_value
      - .address_space:  global
        .offset:         8
        .size:           8
        .value_kind:     global_buffer
      - .offset:         16
        .size:           8
        .value_kind:     by_value
      - .actual_access:  read_only
        .address_space:  global
        .offset:         24
        .size:           8
        .value_kind:     global_buffer
      - .offset:         32
        .size:           8
        .value_kind:     by_value
      - .offset:         40
        .size:           8
        .value_kind:     by_value
      - .address_space:  global
        .offset:         48
        .size:           8
        .value_kind:     global_buffer
      - .offset:         56
        .size:           8
        .value_kind:     by_value
      - .offset:         64
        .size:           8
        .value_kind:     by_value
      - .offset:         72
        .size:           4
        .value_kind:     by_value
    .group_segment_fixed_size: 0
    .kernarg_segment_align: 8
    .kernarg_segment_size: 76
    .language:       OpenCL C
    .language_version:
      - 2
      - 0
    .max_flat_workgroup_size: 256
    .name:           _ZL22rocblas_saxpy_2_kernelILi256EDF16_PKDF16_S1_PDF16_EviT1_lT2_llT3_lli
    .private_segment_fixed_size: 0
    .sgpr_count:     26
    .sgpr_spill_count: 0
    .symbol:         _ZL22rocblas_saxpy_2_kernelILi256EDF16_PKDF16_S1_PDF16_EviT1_lT2_llT3_lli.kd
    .uniform_work_group_size: 1
    .uses_dynamic_stack: false
    .vgpr_count:     10
    .vgpr_spill_count: 0
    .wavefront_size: 32
  - .args:
      - .offset:         0
        .size:           4
        .value_kind:     by_value
      - .offset:         4
        .size:           2
        .value_kind:     by_value
      - .offset:         8
        .size:           8
        .value_kind:     by_value
      - .actual_access:  read_only
        .address_space:  global
        .offset:         16
        .size:           8
        .value_kind:     global_buffer
      - .offset:         24
        .size:           8
        .value_kind:     by_value
      - .offset:         32
        .size:           8
        .value_kind:     by_value
      - .address_space:  global
        .offset:         40
        .size:           8
        .value_kind:     global_buffer
      - .offset:         48
        .size:           8
        .value_kind:     by_value
      - .offset:         56
        .size:           8
        .value_kind:     by_value
      - .offset:         64
        .size:           4
        .value_kind:     by_value
    .group_segment_fixed_size: 0
    .kernarg_segment_align: 8
    .kernarg_segment_size: 68
    .language:       OpenCL C
    .language_version:
      - 2
      - 0
    .max_flat_workgroup_size: 256
    .name:           _ZL22rocblas_saxpy_2_kernelILi256EDF16_DF16_PKDF16_PDF16_EviT1_lT2_llT3_lli
    .private_segment_fixed_size: 0
    .sgpr_count:     24
    .sgpr_spill_count: 0
    .symbol:         _ZL22rocblas_saxpy_2_kernelILi256EDF16_DF16_PKDF16_PDF16_EviT1_lT2_llT3_lli.kd
    .uniform_work_group_size: 1
    .uses_dynamic_stack: false
    .vgpr_count:     8
    .vgpr_spill_count: 0
    .wavefront_size: 32
  - .args:
      - .offset:         0
        .size:           4
        .value_kind:     by_value
      - .address_space:  global
        .offset:         8
        .size:           8
        .value_kind:     global_buffer
      - .offset:         16
        .size:           8
        .value_kind:     by_value
      - .address_space:  global
        .offset:         24
        .size:           8
        .value_kind:     global_buffer
      - .offset:         32
        .size:           8
        .value_kind:     by_value
      - .offset:         40
        .size:           4
        .value_kind:     by_value
      - .offset:         48
        .size:           8
        .value_kind:     by_value
      - .address_space:  global
        .offset:         56
        .size:           8
        .value_kind:     global_buffer
      - .offset:         64
        .size:           8
        .value_kind:     by_value
      - .offset:         72
        .size:           4
        .value_kind:     by_value
      - .offset:         80
        .size:           8
        .value_kind:     by_value
      - .offset:         88
        .size:           4
        .value_kind:     by_value
      - .offset:         96
        .size:           4
        .value_kind:     hidden_block_count_x
      - .offset:         100
        .size:           4
        .value_kind:     hidden_block_count_y
      - .offset:         104
        .size:           4
        .value_kind:     hidden_block_count_z
      - .offset:         108
        .size:           2
        .value_kind:     hidden_group_size_x
      - .offset:         110
        .size:           2
        .value_kind:     hidden_group_size_y
      - .offset:         112
        .size:           2
        .value_kind:     hidden_group_size_z
      - .offset:         114
        .size:           2
        .value_kind:     hidden_remainder_x
      - .offset:         116
        .size:           2
        .value_kind:     hidden_remainder_y
      - .offset:         118
        .size:           2
        .value_kind:     hidden_remainder_z
      - .offset:         136
        .size:           8
        .value_kind:     hidden_global_offset_x
      - .offset:         144
        .size:           8
        .value_kind:     hidden_global_offset_y
      - .offset:         152
        .size:           8
        .value_kind:     hidden_global_offset_z
      - .offset:         160
        .size:           2
        .value_kind:     hidden_grid_dims
    .group_segment_fixed_size: 0
    .kernarg_segment_align: 8
    .kernarg_segment_size: 352
    .language:       OpenCL C
    .language_version:
      - 2
      - 0
    .max_flat_workgroup_size: 1024
    .name:           _ZL27rocblas_axpy_kernel_batchedIiLi128ELi8EDF16_PKDF16_S1_PDF16_EviT3_lT4_lT_lT5_lS5_li
    .private_segment_fixed_size: 0
    .sgpr_count:     25
    .sgpr_spill_count: 0
    .symbol:         _ZL27rocblas_axpy_kernel_batchedIiLi128ELi8EDF16_PKDF16_S1_PDF16_EviT3_lT4_lT_lT5_lS5_li.kd
    .uniform_work_group_size: 1
    .uses_dynamic_stack: false
    .vgpr_count:     13
    .vgpr_spill_count: 0
    .wavefront_size: 32
  - .args:
      - .offset:         0
        .size:           4
        .value_kind:     by_value
      - .offset:         4
        .size:           2
        .value_kind:     by_value
      - .offset:         8
        .size:           8
        .value_kind:     by_value
      - .address_space:  global
        .offset:         16
        .size:           8
        .value_kind:     global_buffer
      - .offset:         24
        .size:           8
        .value_kind:     by_value
      - .offset:         32
        .size:           4
        .value_kind:     by_value
      - .offset:         40
        .size:           8
        .value_kind:     by_value
      - .address_space:  global
        .offset:         48
        .size:           8
        .value_kind:     global_buffer
      - .offset:         56
        .size:           8
        .value_kind:     by_value
      - .offset:         64
        .size:           4
        .value_kind:     by_value
      - .offset:         72
        .size:           8
        .value_kind:     by_value
      - .offset:         80
        .size:           4
        .value_kind:     by_value
      - .offset:         88
        .size:           4
        .value_kind:     hidden_block_count_x
      - .offset:         92
        .size:           4
        .value_kind:     hidden_block_count_y
      - .offset:         96
        .size:           4
        .value_kind:     hidden_block_count_z
      - .offset:         100
        .size:           2
        .value_kind:     hidden_group_size_x
      - .offset:         102
        .size:           2
        .value_kind:     hidden_group_size_y
      - .offset:         104
        .size:           2
        .value_kind:     hidden_group_size_z
      - .offset:         106
        .size:           2
        .value_kind:     hidden_remainder_x
      - .offset:         108
        .size:           2
        .value_kind:     hidden_remainder_y
      - .offset:         110
        .size:           2
        .value_kind:     hidden_remainder_z
      - .offset:         128
        .size:           8
        .value_kind:     hidden_global_offset_x
      - .offset:         136
        .size:           8
        .value_kind:     hidden_global_offset_y
      - .offset:         144
        .size:           8
        .value_kind:     hidden_global_offset_z
      - .offset:         152
        .size:           2
        .value_kind:     hidden_grid_dims
    .group_segment_fixed_size: 0
    .kernarg_segment_align: 8
    .kernarg_segment_size: 344
    .language:       OpenCL C
    .language_version:
      - 2
      - 0
    .max_flat_workgroup_size: 1024
    .name:           _ZL27rocblas_axpy_kernel_batchedIiLi128ELi8EDF16_DF16_PKDF16_PDF16_EviT3_lT4_lT_lT5_lS5_li
    .private_segment_fixed_size: 0
    .sgpr_count:     21
    .sgpr_spill_count: 0
    .symbol:         _ZL27rocblas_axpy_kernel_batchedIiLi128ELi8EDF16_DF16_PKDF16_PDF16_EviT3_lT4_lT_lT5_lS5_li.kd
    .uniform_work_group_size: 1
    .uses_dynamic_stack: false
    .vgpr_count:     12
    .vgpr_spill_count: 0
    .wavefront_size: 32
  - .args:
      - .offset:         0
        .size:           4
        .value_kind:     by_value
      - .address_space:  global
        .offset:         8
        .size:           8
        .value_kind:     global_buffer
      - .offset:         16
        .size:           8
        .value_kind:     by_value
      - .actual_access:  read_only
        .address_space:  global
        .offset:         24
        .size:           8
        .value_kind:     global_buffer
      - .offset:         32
        .size:           8
        .value_kind:     by_value
      - .offset:         40
        .size:           4
        .value_kind:     by_value
      - .offset:         48
        .size:           8
        .value_kind:     by_value
      - .address_space:  global
        .offset:         56
        .size:           8
        .value_kind:     global_buffer
      - .offset:         64
        .size:           8
        .value_kind:     by_value
      - .offset:         72
        .size:           4
        .value_kind:     by_value
      - .offset:         80
        .size:           8
        .value_kind:     by_value
      - .offset:         88
        .size:           4
        .value_kind:     by_value
    .group_segment_fixed_size: 0
    .kernarg_segment_align: 8
    .kernarg_segment_size: 92
    .language:       OpenCL C
    .language_version:
      - 2
      - 0
    .max_flat_workgroup_size: 256
    .name:           _ZL19rocblas_axpy_kernelIiLi256EDF16_PKDF16_S1_PDF16_EviT2_lT3_lT_lT4_lS5_li
    .private_segment_fixed_size: 0
    .sgpr_count:     28
    .sgpr_spill_count: 0
    .symbol:         _ZL19rocblas_axpy_kernelIiLi256EDF16_PKDF16_S1_PDF16_EviT2_lT3_lT_lT4_lS5_li.kd
    .uniform_work_group_size: 1
    .uses_dynamic_stack: false
    .vgpr_count:     12
    .vgpr_spill_count: 0
    .wavefront_size: 32
  - .args:
      - .offset:         0
        .size:           4
        .value_kind:     by_value
      - .offset:         4
        .size:           2
        .value_kind:     by_value
      - .offset:         8
        .size:           8
        .value_kind:     by_value
      - .actual_access:  read_only
        .address_space:  global
        .offset:         16
        .size:           8
        .value_kind:     global_buffer
      - .offset:         24
        .size:           8
        .value_kind:     by_value
      - .offset:         32
        .size:           4
        .value_kind:     by_value
      - .offset:         40
        .size:           8
        .value_kind:     by_value
      - .address_space:  global
        .offset:         48
        .size:           8
        .value_kind:     global_buffer
      - .offset:         56
        .size:           8
        .value_kind:     by_value
      - .offset:         64
        .size:           4
        .value_kind:     by_value
      - .offset:         72
        .size:           8
        .value_kind:     by_value
      - .offset:         80
        .size:           4
        .value_kind:     by_value
    .group_segment_fixed_size: 0
    .kernarg_segment_align: 8
    .kernarg_segment_size: 84
    .language:       OpenCL C
    .language_version:
      - 2
      - 0
    .max_flat_workgroup_size: 256
    .name:           _ZL19rocblas_axpy_kernelIiLi256EDF16_DF16_PKDF16_PDF16_EviT2_lT3_lT_lT4_lS5_li
    .private_segment_fixed_size: 0
    .sgpr_count:     24
    .sgpr_spill_count: 0
    .symbol:         _ZL19rocblas_axpy_kernelIiLi256EDF16_DF16_PKDF16_PDF16_EviT2_lT3_lT_lT4_lS5_li.kd
    .uniform_work_group_size: 1
    .uses_dynamic_stack: false
    .vgpr_count:     10
    .vgpr_spill_count: 0
    .wavefront_size: 32
  - .args:
      - .offset:         0
        .size:           4
        .value_kind:     by_value
      - .address_space:  global
        .offset:         8
        .size:           8
        .value_kind:     global_buffer
      - .offset:         16
        .size:           8
        .value_kind:     by_value
      - .actual_access:  read_only
        .address_space:  global
        .offset:         24
        .size:           8
        .value_kind:     global_buffer
      - .offset:         32
        .size:           8
        .value_kind:     by_value
      - .offset:         40
        .size:           8
        .value_kind:     by_value
      - .offset:         48
        .size:           8
        .value_kind:     by_value
      - .address_space:  global
        .offset:         56
        .size:           8
        .value_kind:     global_buffer
      - .offset:         64
        .size:           8
        .value_kind:     by_value
      - .offset:         72
        .size:           8
        .value_kind:     by_value
      - .offset:         80
        .size:           8
        .value_kind:     by_value
      - .offset:         88
        .size:           4
        .value_kind:     by_value
    .group_segment_fixed_size: 0
    .kernarg_segment_align: 8
    .kernarg_segment_size: 92
    .language:       OpenCL C
    .language_version:
      - 2
      - 0
    .max_flat_workgroup_size: 256
    .name:           _ZL19rocblas_axpy_kernelIlLi256EDF16_PKDF16_S1_PDF16_EviT2_lT3_lT_lT4_lS5_li
    .private_segment_fixed_size: 0
    .sgpr_count:     29
    .sgpr_spill_count: 0
    .symbol:         _ZL19rocblas_axpy_kernelIlLi256EDF16_PKDF16_S1_PDF16_EviT2_lT3_lT_lT4_lS5_li.kd
    .uniform_work_group_size: 1
    .uses_dynamic_stack: false
    .vgpr_count:     12
    .vgpr_spill_count: 0
    .wavefront_size: 32
  - .args:
      - .offset:         0
        .size:           4
        .value_kind:     by_value
      - .offset:         4
        .size:           2
        .value_kind:     by_value
      - .offset:         8
        .size:           8
        .value_kind:     by_value
      - .actual_access:  read_only
        .address_space:  global
        .offset:         16
        .size:           8
        .value_kind:     global_buffer
      - .offset:         24
        .size:           8
        .value_kind:     by_value
      - .offset:         32
        .size:           8
        .value_kind:     by_value
      - .offset:         40
        .size:           8
        .value_kind:     by_value
      - .address_space:  global
        .offset:         48
        .size:           8
        .value_kind:     global_buffer
      - .offset:         56
        .size:           8
        .value_kind:     by_value
      - .offset:         64
        .size:           8
        .value_kind:     by_value
      - .offset:         72
        .size:           8
        .value_kind:     by_value
      - .offset:         80
        .size:           4
        .value_kind:     by_value
    .group_segment_fixed_size: 0
    .kernarg_segment_align: 8
    .kernarg_segment_size: 84
    .language:       OpenCL C
    .language_version:
      - 2
      - 0
    .max_flat_workgroup_size: 256
    .name:           _ZL19rocblas_axpy_kernelIlLi256EDF16_DF16_PKDF16_PDF16_EviT2_lT3_lT_lT4_lS5_li
    .private_segment_fixed_size: 0
    .sgpr_count:     23
    .sgpr_spill_count: 0
    .symbol:         _ZL19rocblas_axpy_kernelIlLi256EDF16_DF16_PKDF16_PDF16_EviT2_lT3_lT_lT4_lS5_li.kd
    .uniform_work_group_size: 1
    .uses_dynamic_stack: false
    .vgpr_count:     10
    .vgpr_spill_count: 0
    .wavefront_size: 32
  - .args:
      - .offset:         0
        .size:           4
        .value_kind:     by_value
      - .address_space:  global
        .offset:         8
        .size:           8
        .value_kind:     global_buffer
      - .offset:         16
        .size:           8
        .value_kind:     by_value
      - .address_space:  global
        .offset:         24
        .size:           8
        .value_kind:     global_buffer
      - .offset:         32
        .size:           8
        .value_kind:     by_value
      - .offset:         40
        .size:           8
        .value_kind:     by_value
      - .address_space:  global
        .offset:         48
        .size:           8
        .value_kind:     global_buffer
      - .offset:         56
        .size:           8
        .value_kind:     by_value
      - .offset:         64
        .size:           8
        .value_kind:     by_value
      - .offset:         72
        .size:           4
        .value_kind:     by_value
    .group_segment_fixed_size: 0
    .kernarg_segment_align: 8
    .kernarg_segment_size: 76
    .language:       OpenCL C
    .language_version:
      - 2
      - 0
    .max_flat_workgroup_size: 256
    .name:           _ZL26rocblas_haxpy_mlt_8_kernelILi256EPKDF16_PKfPfEviT0_lT1_llT2_lli
    .private_segment_fixed_size: 0
    .sgpr_count:     27
    .sgpr_spill_count: 0
    .symbol:         _ZL26rocblas_haxpy_mlt_8_kernelILi256EPKDF16_PKfPfEviT0_lT1_llT2_lli.kd
    .uniform_work_group_size: 1
    .uses_dynamic_stack: false
    .vgpr_count:     18
    .vgpr_spill_count: 0
    .wavefront_size: 32
  - .args:
      - .offset:         0
        .size:           4
        .value_kind:     by_value
      - .address_space:  global
        .offset:         8
        .size:           8
        .value_kind:     global_buffer
      - .offset:         16
        .size:           8
        .value_kind:     by_value
      - .address_space:  global
        .offset:         24
        .size:           8
        .value_kind:     global_buffer
      - .offset:         32
        .size:           8
        .value_kind:     by_value
      - .offset:         40
        .size:           8
        .value_kind:     by_value
      - .address_space:  global
        .offset:         48
        .size:           8
        .value_kind:     global_buffer
      - .offset:         56
        .size:           8
        .value_kind:     by_value
      - .offset:         64
        .size:           8
        .value_kind:     by_value
      - .offset:         72
        .size:           4
        .value_kind:     by_value
    .group_segment_fixed_size: 0
    .kernarg_segment_align: 8
    .kernarg_segment_size: 76
    .language:       OpenCL C
    .language_version:
      - 2
      - 0
    .max_flat_workgroup_size: 256
    .name:           _ZL26rocblas_haxpy_mod_8_kernelILi256EPKfS1_PfEviT0_lT1_llT2_lli
    .private_segment_fixed_size: 0
    .sgpr_count:     26
    .sgpr_spill_count: 0
    .symbol:         _ZL26rocblas_haxpy_mod_8_kernelILi256EPKfS1_PfEviT0_lT1_llT2_lli.kd
    .uniform_work_group_size: 1
    .uses_dynamic_stack: false
    .vgpr_count:     12
    .vgpr_spill_count: 0
    .wavefront_size: 32
  - .args:
      - .offset:         0
        .size:           4
        .value_kind:     by_value
      - .offset:         4
        .size:           2
        .value_kind:     by_value
      - .offset:         8
        .size:           8
        .value_kind:     by_value
      - .address_space:  global
        .offset:         16
        .size:           8
        .value_kind:     global_buffer
      - .offset:         24
        .size:           8
        .value_kind:     by_value
      - .offset:         32
        .size:           8
        .value_kind:     by_value
      - .address_space:  global
        .offset:         40
        .size:           8
        .value_kind:     global_buffer
      - .offset:         48
        .size:           8
        .value_kind:     by_value
      - .offset:         56
        .size:           8
        .value_kind:     by_value
      - .offset:         64
        .size:           4
        .value_kind:     by_value
    .group_segment_fixed_size: 0
    .kernarg_segment_align: 8
    .kernarg_segment_size: 68
    .language:       OpenCL C
    .language_version:
      - 2
      - 0
    .max_flat_workgroup_size: 256
    .name:           _ZL26rocblas_haxpy_mlt_8_kernelILi256EDF16_PKfPfEviT0_lT1_llT2_lli
    .private_segment_fixed_size: 0
    .sgpr_count:     22
    .sgpr_spill_count: 0
    .symbol:         _ZL26rocblas_haxpy_mlt_8_kernelILi256EDF16_PKfPfEviT0_lT1_llT2_lli.kd
    .uniform_work_group_size: 1
    .uses_dynamic_stack: false
    .vgpr_count:     16
    .vgpr_spill_count: 0
    .wavefront_size: 32
  - .args:
      - .offset:         0
        .size:           4
        .value_kind:     by_value
      - .offset:         4
        .size:           4
        .value_kind:     by_value
      - .offset:         8
        .size:           8
        .value_kind:     by_value
      - .address_space:  global
        .offset:         16
        .size:           8
        .value_kind:     global_buffer
      - .offset:         24
        .size:           8
        .value_kind:     by_value
      - .offset:         32
        .size:           8
        .value_kind:     by_value
      - .address_space:  global
        .offset:         40
        .size:           8
        .value_kind:     global_buffer
      - .offset:         48
        .size:           8
        .value_kind:     by_value
      - .offset:         56
        .size:           8
        .value_kind:     by_value
      - .offset:         64
        .size:           4
        .value_kind:     by_value
    .group_segment_fixed_size: 0
    .kernarg_segment_align: 8
    .kernarg_segment_size: 68
    .language:       OpenCL C
    .language_version:
      - 2
      - 0
    .max_flat_workgroup_size: 256
    .name:           _ZL26rocblas_haxpy_mod_8_kernelILi256EfPKfPfEviT0_lT1_llT2_lli
    .private_segment_fixed_size: 0
    .sgpr_count:     22
    .sgpr_spill_count: 0
    .symbol:         _ZL26rocblas_haxpy_mod_8_kernelILi256EfPKfPfEviT0_lT1_llT2_lli.kd
    .uniform_work_group_size: 1
    .uses_dynamic_stack: false
    .vgpr_count:     10
    .vgpr_spill_count: 0
    .wavefront_size: 32
  - .args:
      - .offset:         0
        .size:           4
        .value_kind:     by_value
      - .address_space:  global
        .offset:         8
        .size:           8
        .value_kind:     global_buffer
      - .offset:         16
        .size:           8
        .value_kind:     by_value
      - .actual_access:  read_only
        .address_space:  global
        .offset:         24
        .size:           8
        .value_kind:     global_buffer
      - .offset:         32
        .size:           8
        .value_kind:     by_value
      - .offset:         40
        .size:           8
        .value_kind:     by_value
      - .address_space:  global
        .offset:         48
        .size:           8
        .value_kind:     global_buffer
      - .offset:         56
        .size:           8
        .value_kind:     by_value
      - .offset:         64
        .size:           8
        .value_kind:     by_value
      - .offset:         72
        .size:           4
        .value_kind:     by_value
    .group_segment_fixed_size: 0
    .kernarg_segment_align: 8
    .kernarg_segment_size: 76
    .language:       OpenCL C
    .language_version:
      - 2
      - 0
    .max_flat_workgroup_size: 256
    .name:           _ZL22rocblas_saxpy_2_kernelILi256EfPKfS1_PfEviT1_lT2_llT3_lli
    .private_segment_fixed_size: 0
    .sgpr_count:     27
    .sgpr_spill_count: 0
    .symbol:         _ZL22rocblas_saxpy_2_kernelILi256EfPKfS1_PfEviT1_lT2_llT3_lli.kd
    .uniform_work_group_size: 1
    .uses_dynamic_stack: false
    .vgpr_count:     10
    .vgpr_spill_count: 0
    .wavefront_size: 32
  - .args:
      - .offset:         0
        .size:           4
        .value_kind:     by_value
      - .offset:         4
        .size:           4
        .value_kind:     by_value
      - .offset:         8
        .size:           8
        .value_kind:     by_value
      - .actual_access:  read_only
        .address_space:  global
        .offset:         16
        .size:           8
        .value_kind:     global_buffer
      - .offset:         24
        .size:           8
        .value_kind:     by_value
      - .offset:         32
        .size:           8
        .value_kind:     by_value
      - .address_space:  global
        .offset:         40
        .size:           8
        .value_kind:     global_buffer
      - .offset:         48
        .size:           8
        .value_kind:     by_value
      - .offset:         56
        .size:           8
        .value_kind:     by_value
      - .offset:         64
        .size:           4
        .value_kind:     by_value
    .group_segment_fixed_size: 0
    .kernarg_segment_align: 8
    .kernarg_segment_size: 68
    .language:       OpenCL C
    .language_version:
      - 2
      - 0
    .max_flat_workgroup_size: 256
    .name:           _ZL22rocblas_saxpy_2_kernelILi256EffPKfPfEviT1_lT2_llT3_lli
    .private_segment_fixed_size: 0
    .sgpr_count:     24
    .sgpr_spill_count: 0
    .symbol:         _ZL22rocblas_saxpy_2_kernelILi256EffPKfPfEviT1_lT2_llT3_lli.kd
    .uniform_work_group_size: 1
    .uses_dynamic_stack: false
    .vgpr_count:     12
    .vgpr_spill_count: 0
    .wavefront_size: 32
  - .args:
      - .offset:         0
        .size:           4
        .value_kind:     by_value
      - .address_space:  global
        .offset:         8
        .size:           8
        .value_kind:     global_buffer
      - .offset:         16
        .size:           8
        .value_kind:     by_value
      - .address_space:  global
        .offset:         24
        .size:           8
        .value_kind:     global_buffer
      - .offset:         32
        .size:           8
        .value_kind:     by_value
      - .offset:         40
        .size:           4
        .value_kind:     by_value
      - .offset:         48
        .size:           8
        .value_kind:     by_value
      - .address_space:  global
        .offset:         56
        .size:           8
        .value_kind:     global_buffer
      - .offset:         64
        .size:           8
        .value_kind:     by_value
      - .offset:         72
        .size:           4
        .value_kind:     by_value
      - .offset:         80
        .size:           8
        .value_kind:     by_value
      - .offset:         88
        .size:           4
        .value_kind:     by_value
      - .offset:         96
        .size:           4
        .value_kind:     hidden_block_count_x
      - .offset:         100
        .size:           4
        .value_kind:     hidden_block_count_y
      - .offset:         104
        .size:           4
        .value_kind:     hidden_block_count_z
      - .offset:         108
        .size:           2
        .value_kind:     hidden_group_size_x
      - .offset:         110
        .size:           2
        .value_kind:     hidden_group_size_y
      - .offset:         112
        .size:           2
        .value_kind:     hidden_group_size_z
      - .offset:         114
        .size:           2
        .value_kind:     hidden_remainder_x
      - .offset:         116
        .size:           2
        .value_kind:     hidden_remainder_y
      - .offset:         118
        .size:           2
        .value_kind:     hidden_remainder_z
      - .offset:         136
        .size:           8
        .value_kind:     hidden_global_offset_x
      - .offset:         144
        .size:           8
        .value_kind:     hidden_global_offset_y
      - .offset:         152
        .size:           8
        .value_kind:     hidden_global_offset_z
      - .offset:         160
        .size:           2
        .value_kind:     hidden_grid_dims
    .group_segment_fixed_size: 0
    .kernarg_segment_align: 8
    .kernarg_segment_size: 352
    .language:       OpenCL C
    .language_version:
      - 2
      - 0
    .max_flat_workgroup_size: 1024
    .name:           _ZL27rocblas_axpy_kernel_batchedIiLi128ELi8EfPKfS1_PfEviT3_lT4_lT_lT5_lS5_li
    .private_segment_fixed_size: 0
    .sgpr_count:     25
    .sgpr_spill_count: 0
    .symbol:         _ZL27rocblas_axpy_kernel_batchedIiLi128ELi8EfPKfS1_PfEviT3_lT4_lT_lT5_lS5_li.kd
    .uniform_work_group_size: 1
    .uses_dynamic_stack: false
    .vgpr_count:     13
    .vgpr_spill_count: 0
    .wavefront_size: 32
  - .args:
      - .offset:         0
        .size:           4
        .value_kind:     by_value
      - .offset:         4
        .size:           4
        .value_kind:     by_value
      - .offset:         8
        .size:           8
        .value_kind:     by_value
      - .address_space:  global
        .offset:         16
        .size:           8
        .value_kind:     global_buffer
      - .offset:         24
        .size:           8
        .value_kind:     by_value
      - .offset:         32
        .size:           4
        .value_kind:     by_value
      - .offset:         40
        .size:           8
        .value_kind:     by_value
      - .address_space:  global
        .offset:         48
        .size:           8
        .value_kind:     global_buffer
      - .offset:         56
        .size:           8
        .value_kind:     by_value
      - .offset:         64
        .size:           4
        .value_kind:     by_value
      - .offset:         72
        .size:           8
        .value_kind:     by_value
      - .offset:         80
        .size:           4
        .value_kind:     by_value
      - .offset:         88
        .size:           4
        .value_kind:     hidden_block_count_x
      - .offset:         92
        .size:           4
        .value_kind:     hidden_block_count_y
      - .offset:         96
        .size:           4
        .value_kind:     hidden_block_count_z
      - .offset:         100
        .size:           2
        .value_kind:     hidden_group_size_x
      - .offset:         102
        .size:           2
        .value_kind:     hidden_group_size_y
      - .offset:         104
        .size:           2
        .value_kind:     hidden_group_size_z
      - .offset:         106
        .size:           2
        .value_kind:     hidden_remainder_x
      - .offset:         108
        .size:           2
        .value_kind:     hidden_remainder_y
      - .offset:         110
        .size:           2
        .value_kind:     hidden_remainder_z
      - .offset:         128
        .size:           8
        .value_kind:     hidden_global_offset_x
      - .offset:         136
        .size:           8
        .value_kind:     hidden_global_offset_y
      - .offset:         144
        .size:           8
        .value_kind:     hidden_global_offset_z
      - .offset:         152
        .size:           2
        .value_kind:     hidden_grid_dims
    .group_segment_fixed_size: 0
    .kernarg_segment_align: 8
    .kernarg_segment_size: 344
    .language:       OpenCL C
    .language_version:
      - 2
      - 0
    .max_flat_workgroup_size: 1024
    .name:           _ZL27rocblas_axpy_kernel_batchedIiLi128ELi8EffPKfPfEviT3_lT4_lT_lT5_lS5_li
    .private_segment_fixed_size: 0
    .sgpr_count:     21
    .sgpr_spill_count: 0
    .symbol:         _ZL27rocblas_axpy_kernel_batchedIiLi128ELi8EffPKfPfEviT3_lT4_lT_lT5_lS5_li.kd
    .uniform_work_group_size: 1
    .uses_dynamic_stack: false
    .vgpr_count:     12
    .vgpr_spill_count: 0
    .wavefront_size: 32
  - .args:
      - .offset:         0
        .size:           4
        .value_kind:     by_value
      - .address_space:  global
        .offset:         8
        .size:           8
        .value_kind:     global_buffer
      - .offset:         16
        .size:           8
        .value_kind:     by_value
      - .actual_access:  read_only
        .address_space:  global
        .offset:         24
        .size:           8
        .value_kind:     global_buffer
      - .offset:         32
        .size:           8
        .value_kind:     by_value
      - .offset:         40
        .size:           4
        .value_kind:     by_value
      - .offset:         48
        .size:           8
        .value_kind:     by_value
      - .address_space:  global
        .offset:         56
        .size:           8
        .value_kind:     global_buffer
      - .offset:         64
        .size:           8
        .value_kind:     by_value
      - .offset:         72
        .size:           4
        .value_kind:     by_value
      - .offset:         80
        .size:           8
        .value_kind:     by_value
      - .offset:         88
        .size:           4
        .value_kind:     by_value
    .group_segment_fixed_size: 0
    .kernarg_segment_align: 8
    .kernarg_segment_size: 92
    .language:       OpenCL C
    .language_version:
      - 2
      - 0
    .max_flat_workgroup_size: 256
    .name:           _ZL19rocblas_axpy_kernelIiLi256EfPKfS1_PfEviT2_lT3_lT_lT4_lS5_li
    .private_segment_fixed_size: 0
    .sgpr_count:     28
    .sgpr_spill_count: 0
    .symbol:         _ZL19rocblas_axpy_kernelIiLi256EfPKfS1_PfEviT2_lT3_lT_lT4_lS5_li.kd
    .uniform_work_group_size: 1
    .uses_dynamic_stack: false
    .vgpr_count:     10
    .vgpr_spill_count: 0
    .wavefront_size: 32
  - .args:
      - .offset:         0
        .size:           4
        .value_kind:     by_value
      - .offset:         4
        .size:           4
        .value_kind:     by_value
      - .offset:         8
        .size:           8
        .value_kind:     by_value
      - .actual_access:  read_only
        .address_space:  global
        .offset:         16
        .size:           8
        .value_kind:     global_buffer
      - .offset:         24
        .size:           8
        .value_kind:     by_value
      - .offset:         32
        .size:           4
        .value_kind:     by_value
      - .offset:         40
        .size:           8
        .value_kind:     by_value
      - .address_space:  global
        .offset:         48
        .size:           8
        .value_kind:     global_buffer
      - .offset:         56
        .size:           8
        .value_kind:     by_value
      - .offset:         64
        .size:           4
        .value_kind:     by_value
      - .offset:         72
        .size:           8
        .value_kind:     by_value
      - .offset:         80
        .size:           4
        .value_kind:     by_value
    .group_segment_fixed_size: 0
    .kernarg_segment_align: 8
    .kernarg_segment_size: 84
    .language:       OpenCL C
    .language_version:
      - 2
      - 0
    .max_flat_workgroup_size: 256
    .name:           _ZL19rocblas_axpy_kernelIiLi256EffPKfPfEviT2_lT3_lT_lT4_lS5_li
    .private_segment_fixed_size: 0
    .sgpr_count:     24
    .sgpr_spill_count: 0
    .symbol:         _ZL19rocblas_axpy_kernelIiLi256EffPKfPfEviT2_lT3_lT_lT4_lS5_li.kd
    .uniform_work_group_size: 1
    .uses_dynamic_stack: false
    .vgpr_count:     10
    .vgpr_spill_count: 0
    .wavefront_size: 32
  - .args:
      - .offset:         0
        .size:           4
        .value_kind:     by_value
      - .address_space:  global
        .offset:         8
        .size:           8
        .value_kind:     global_buffer
      - .offset:         16
        .size:           8
        .value_kind:     by_value
      - .actual_access:  read_only
        .address_space:  global
        .offset:         24
        .size:           8
        .value_kind:     global_buffer
      - .offset:         32
        .size:           8
        .value_kind:     by_value
      - .offset:         40
        .size:           8
        .value_kind:     by_value
      - .offset:         48
        .size:           8
        .value_kind:     by_value
      - .address_space:  global
        .offset:         56
        .size:           8
        .value_kind:     global_buffer
      - .offset:         64
        .size:           8
        .value_kind:     by_value
      - .offset:         72
        .size:           8
        .value_kind:     by_value
      - .offset:         80
        .size:           8
        .value_kind:     by_value
      - .offset:         88
        .size:           4
        .value_kind:     by_value
    .group_segment_fixed_size: 0
    .kernarg_segment_align: 8
    .kernarg_segment_size: 92
    .language:       OpenCL C
    .language_version:
      - 2
      - 0
    .max_flat_workgroup_size: 256
    .name:           _ZL19rocblas_axpy_kernelIlLi256EfPKfS1_PfEviT2_lT3_lT_lT4_lS5_li
    .private_segment_fixed_size: 0
    .sgpr_count:     29
    .sgpr_spill_count: 0
    .symbol:         _ZL19rocblas_axpy_kernelIlLi256EfPKfS1_PfEviT2_lT3_lT_lT4_lS5_li.kd
    .uniform_work_group_size: 1
    .uses_dynamic_stack: false
    .vgpr_count:     10
    .vgpr_spill_count: 0
    .wavefront_size: 32
  - .args:
      - .offset:         0
        .size:           4
        .value_kind:     by_value
      - .offset:         4
        .size:           4
        .value_kind:     by_value
      - .offset:         8
        .size:           8
        .value_kind:     by_value
      - .actual_access:  read_only
        .address_space:  global
        .offset:         16
        .size:           8
        .value_kind:     global_buffer
      - .offset:         24
        .size:           8
        .value_kind:     by_value
      - .offset:         32
        .size:           8
        .value_kind:     by_value
      - .offset:         40
        .size:           8
        .value_kind:     by_value
      - .address_space:  global
        .offset:         48
        .size:           8
        .value_kind:     global_buffer
      - .offset:         56
        .size:           8
        .value_kind:     by_value
      - .offset:         64
        .size:           8
        .value_kind:     by_value
      - .offset:         72
        .size:           8
        .value_kind:     by_value
      - .offset:         80
        .size:           4
        .value_kind:     by_value
    .group_segment_fixed_size: 0
    .kernarg_segment_align: 8
    .kernarg_segment_size: 84
    .language:       OpenCL C
    .language_version:
      - 2
      - 0
    .max_flat_workgroup_size: 256
    .name:           _ZL19rocblas_axpy_kernelIlLi256EffPKfPfEviT2_lT3_lT_lT4_lS5_li
    .private_segment_fixed_size: 0
    .sgpr_count:     23
    .sgpr_spill_count: 0
    .symbol:         _ZL19rocblas_axpy_kernelIlLi256EffPKfPfEviT2_lT3_lT_lT4_lS5_li.kd
    .uniform_work_group_size: 1
    .uses_dynamic_stack: false
    .vgpr_count:     10
    .vgpr_spill_count: 0
    .wavefront_size: 32
  - .args:
      - .offset:         0
        .size:           4
        .value_kind:     by_value
      - .address_space:  global
        .offset:         8
        .size:           8
        .value_kind:     global_buffer
      - .offset:         16
        .size:           8
        .value_kind:     by_value
      - .address_space:  global
        .offset:         24
        .size:           8
        .value_kind:     global_buffer
      - .offset:         32
        .size:           8
        .value_kind:     by_value
      - .offset:         40
        .size:           8
        .value_kind:     by_value
      - .address_space:  global
        .offset:         48
        .size:           8
        .value_kind:     global_buffer
      - .offset:         56
        .size:           8
        .value_kind:     by_value
      - .offset:         64
        .size:           8
        .value_kind:     by_value
      - .offset:         72
        .size:           4
        .value_kind:     by_value
    .group_segment_fixed_size: 0
    .kernarg_segment_align: 8
    .kernarg_segment_size: 76
    .language:       OpenCL C
    .language_version:
      - 2
      - 0
    .max_flat_workgroup_size: 256
    .name:           _ZL26rocblas_haxpy_mlt_8_kernelILi256EPKDF16_PKdPdEviT0_lT1_llT2_lli
    .private_segment_fixed_size: 0
    .sgpr_count:     27
    .sgpr_spill_count: 0
    .symbol:         _ZL26rocblas_haxpy_mlt_8_kernelILi256EPKDF16_PKdPdEviT0_lT1_llT2_lli.kd
    .uniform_work_group_size: 1
    .uses_dynamic_stack: false
    .vgpr_count:     18
    .vgpr_spill_count: 0
    .wavefront_size: 32
  - .args:
      - .offset:         0
        .size:           4
        .value_kind:     by_value
      - .address_space:  global
        .offset:         8
        .size:           8
        .value_kind:     global_buffer
      - .offset:         16
        .size:           8
        .value_kind:     by_value
      - .address_space:  global
        .offset:         24
        .size:           8
        .value_kind:     global_buffer
      - .offset:         32
        .size:           8
        .value_kind:     by_value
      - .offset:         40
        .size:           8
        .value_kind:     by_value
      - .address_space:  global
        .offset:         48
        .size:           8
        .value_kind:     global_buffer
      - .offset:         56
        .size:           8
        .value_kind:     by_value
      - .offset:         64
        .size:           8
        .value_kind:     by_value
      - .offset:         72
        .size:           4
        .value_kind:     by_value
    .group_segment_fixed_size: 0
    .kernarg_segment_align: 8
    .kernarg_segment_size: 76
    .language:       OpenCL C
    .language_version:
      - 2
      - 0
    .max_flat_workgroup_size: 256
    .name:           _ZL26rocblas_haxpy_mod_8_kernelILi256EPKdS1_PdEviT0_lT1_llT2_lli
    .private_segment_fixed_size: 0
    .sgpr_count:     26
    .sgpr_spill_count: 0
    .symbol:         _ZL26rocblas_haxpy_mod_8_kernelILi256EPKdS1_PdEviT0_lT1_llT2_lli.kd
    .uniform_work_group_size: 1
    .uses_dynamic_stack: false
    .vgpr_count:     16
    .vgpr_spill_count: 0
    .wavefront_size: 32
  - .args:
      - .offset:         0
        .size:           4
        .value_kind:     by_value
      - .offset:         4
        .size:           2
        .value_kind:     by_value
      - .offset:         8
        .size:           8
        .value_kind:     by_value
      - .address_space:  global
        .offset:         16
        .size:           8
        .value_kind:     global_buffer
      - .offset:         24
        .size:           8
        .value_kind:     by_value
      - .offset:         32
        .size:           8
        .value_kind:     by_value
      - .address_space:  global
        .offset:         40
        .size:           8
        .value_kind:     global_buffer
      - .offset:         48
        .size:           8
        .value_kind:     by_value
      - .offset:         56
        .size:           8
        .value_kind:     by_value
      - .offset:         64
        .size:           4
        .value_kind:     by_value
    .group_segment_fixed_size: 0
    .kernarg_segment_align: 8
    .kernarg_segment_size: 68
    .language:       OpenCL C
    .language_version:
      - 2
      - 0
    .max_flat_workgroup_size: 256
    .name:           _ZL26rocblas_haxpy_mlt_8_kernelILi256EDF16_PKdPdEviT0_lT1_llT2_lli
    .private_segment_fixed_size: 0
    .sgpr_count:     22
    .sgpr_spill_count: 0
    .symbol:         _ZL26rocblas_haxpy_mlt_8_kernelILi256EDF16_PKdPdEviT0_lT1_llT2_lli.kd
    .uniform_work_group_size: 1
    .uses_dynamic_stack: false
    .vgpr_count:     16
    .vgpr_spill_count: 0
    .wavefront_size: 32
  - .args:
      - .offset:         0
        .size:           4
        .value_kind:     by_value
      - .offset:         8
        .size:           8
        .value_kind:     by_value
      - .offset:         16
        .size:           8
        .value_kind:     by_value
      - .address_space:  global
        .offset:         24
        .size:           8
        .value_kind:     global_buffer
      - .offset:         32
        .size:           8
        .value_kind:     by_value
      - .offset:         40
        .size:           8
        .value_kind:     by_value
      - .address_space:  global
        .offset:         48
        .size:           8
        .value_kind:     global_buffer
      - .offset:         56
        .size:           8
        .value_kind:     by_value
      - .offset:         64
        .size:           8
        .value_kind:     by_value
      - .offset:         72
        .size:           4
        .value_kind:     by_value
    .group_segment_fixed_size: 0
    .kernarg_segment_align: 8
    .kernarg_segment_size: 76
    .language:       OpenCL C
    .language_version:
      - 2
      - 0
    .max_flat_workgroup_size: 256
    .name:           _ZL26rocblas_haxpy_mod_8_kernelILi256EdPKdPdEviT0_lT1_llT2_lli
    .private_segment_fixed_size: 0
    .sgpr_count:     25
    .sgpr_spill_count: 0
    .symbol:         _ZL26rocblas_haxpy_mod_8_kernelILi256EdPKdPdEviT0_lT1_llT2_lli.kd
    .uniform_work_group_size: 1
    .uses_dynamic_stack: false
    .vgpr_count:     12
    .vgpr_spill_count: 0
    .wavefront_size: 32
  - .args:
      - .offset:         0
        .size:           4
        .value_kind:     by_value
      - .address_space:  global
        .offset:         8
        .size:           8
        .value_kind:     global_buffer
      - .offset:         16
        .size:           8
        .value_kind:     by_value
      - .actual_access:  read_only
        .address_space:  global
        .offset:         24
        .size:           8
        .value_kind:     global_buffer
      - .offset:         32
        .size:           8
        .value_kind:     by_value
      - .offset:         40
        .size:           8
        .value_kind:     by_value
      - .address_space:  global
        .offset:         48
        .size:           8
        .value_kind:     global_buffer
      - .offset:         56
        .size:           8
        .value_kind:     by_value
      - .offset:         64
        .size:           8
        .value_kind:     by_value
      - .offset:         72
        .size:           4
        .value_kind:     by_value
    .group_segment_fixed_size: 0
    .kernarg_segment_align: 8
    .kernarg_segment_size: 76
    .language:       OpenCL C
    .language_version:
      - 2
      - 0
    .max_flat_workgroup_size: 256
    .name:           _ZL22rocblas_saxpy_2_kernelILi256EdPKdS1_PdEviT1_lT2_llT3_lli
    .private_segment_fixed_size: 0
    .sgpr_count:     26
    .sgpr_spill_count: 0
    .symbol:         _ZL22rocblas_saxpy_2_kernelILi256EdPKdS1_PdEviT1_lT2_llT3_lli.kd
    .uniform_work_group_size: 1
    .uses_dynamic_stack: false
    .vgpr_count:     14
    .vgpr_spill_count: 0
    .wavefront_size: 32
  - .args:
      - .offset:         0
        .size:           4
        .value_kind:     by_value
      - .offset:         8
        .size:           8
        .value_kind:     by_value
      - .offset:         16
        .size:           8
        .value_kind:     by_value
      - .actual_access:  read_only
        .address_space:  global
        .offset:         24
        .size:           8
        .value_kind:     global_buffer
      - .offset:         32
        .size:           8
        .value_kind:     by_value
      - .offset:         40
        .size:           8
        .value_kind:     by_value
      - .address_space:  global
        .offset:         48
        .size:           8
        .value_kind:     global_buffer
      - .offset:         56
        .size:           8
        .value_kind:     by_value
      - .offset:         64
        .size:           8
        .value_kind:     by_value
      - .offset:         72
        .size:           4
        .value_kind:     by_value
    .group_segment_fixed_size: 0
    .kernarg_segment_align: 8
    .kernarg_segment_size: 76
    .language:       OpenCL C
    .language_version:
      - 2
      - 0
    .max_flat_workgroup_size: 256
    .name:           _ZL22rocblas_saxpy_2_kernelILi256EddPKdPdEviT1_lT2_llT3_lli
    .private_segment_fixed_size: 0
    .sgpr_count:     25
    .sgpr_spill_count: 0
    .symbol:         _ZL22rocblas_saxpy_2_kernelILi256EddPKdPdEviT1_lT2_llT3_lli.kd
    .uniform_work_group_size: 1
    .uses_dynamic_stack: false
    .vgpr_count:     14
    .vgpr_spill_count: 0
    .wavefront_size: 32
  - .args:
      - .offset:         0
        .size:           4
        .value_kind:     by_value
      - .address_space:  global
        .offset:         8
        .size:           8
        .value_kind:     global_buffer
      - .offset:         16
        .size:           8
        .value_kind:     by_value
      - .address_space:  global
        .offset:         24
        .size:           8
        .value_kind:     global_buffer
      - .offset:         32
        .size:           8
        .value_kind:     by_value
      - .offset:         40
        .size:           4
        .value_kind:     by_value
      - .offset:         48
        .size:           8
        .value_kind:     by_value
      - .address_space:  global
        .offset:         56
        .size:           8
        .value_kind:     global_buffer
      - .offset:         64
        .size:           8
        .value_kind:     by_value
      - .offset:         72
        .size:           4
        .value_kind:     by_value
      - .offset:         80
        .size:           8
        .value_kind:     by_value
      - .offset:         88
        .size:           4
        .value_kind:     by_value
      - .offset:         96
        .size:           4
        .value_kind:     hidden_block_count_x
      - .offset:         100
        .size:           4
        .value_kind:     hidden_block_count_y
      - .offset:         104
        .size:           4
        .value_kind:     hidden_block_count_z
      - .offset:         108
        .size:           2
        .value_kind:     hidden_group_size_x
      - .offset:         110
        .size:           2
        .value_kind:     hidden_group_size_y
      - .offset:         112
        .size:           2
        .value_kind:     hidden_group_size_z
      - .offset:         114
        .size:           2
        .value_kind:     hidden_remainder_x
      - .offset:         116
        .size:           2
        .value_kind:     hidden_remainder_y
      - .offset:         118
        .size:           2
        .value_kind:     hidden_remainder_z
      - .offset:         136
        .size:           8
        .value_kind:     hidden_global_offset_x
      - .offset:         144
        .size:           8
        .value_kind:     hidden_global_offset_y
      - .offset:         152
        .size:           8
        .value_kind:     hidden_global_offset_z
      - .offset:         160
        .size:           2
        .value_kind:     hidden_grid_dims
    .group_segment_fixed_size: 0
    .kernarg_segment_align: 8
    .kernarg_segment_size: 352
    .language:       OpenCL C
    .language_version:
      - 2
      - 0
    .max_flat_workgroup_size: 1024
    .name:           _ZL27rocblas_axpy_kernel_batchedIiLi128ELi8EdPKdS1_PdEviT3_lT4_lT_lT5_lS5_li
    .private_segment_fixed_size: 0
    .sgpr_count:     25
    .sgpr_spill_count: 0
    .symbol:         _ZL27rocblas_axpy_kernel_batchedIiLi128ELi8EdPKdS1_PdEviT3_lT4_lT_lT5_lS5_li.kd
    .uniform_work_group_size: 1
    .uses_dynamic_stack: false
    .vgpr_count:     16
    .vgpr_spill_count: 0
    .wavefront_size: 32
  - .args:
      - .offset:         0
        .size:           4
        .value_kind:     by_value
      - .offset:         8
        .size:           8
        .value_kind:     by_value
      - .offset:         16
        .size:           8
        .value_kind:     by_value
      - .address_space:  global
        .offset:         24
        .size:           8
        .value_kind:     global_buffer
      - .offset:         32
        .size:           8
        .value_kind:     by_value
      - .offset:         40
        .size:           4
        .value_kind:     by_value
      - .offset:         48
        .size:           8
        .value_kind:     by_value
      - .address_space:  global
        .offset:         56
        .size:           8
        .value_kind:     global_buffer
      - .offset:         64
        .size:           8
        .value_kind:     by_value
      - .offset:         72
        .size:           4
        .value_kind:     by_value
      - .offset:         80
        .size:           8
        .value_kind:     by_value
      - .offset:         88
        .size:           4
        .value_kind:     by_value
      - .offset:         96
        .size:           4
        .value_kind:     hidden_block_count_x
      - .offset:         100
        .size:           4
        .value_kind:     hidden_block_count_y
      - .offset:         104
        .size:           4
        .value_kind:     hidden_block_count_z
      - .offset:         108
        .size:           2
        .value_kind:     hidden_group_size_x
      - .offset:         110
        .size:           2
        .value_kind:     hidden_group_size_y
      - .offset:         112
        .size:           2
        .value_kind:     hidden_group_size_z
      - .offset:         114
        .size:           2
        .value_kind:     hidden_remainder_x
      - .offset:         116
        .size:           2
        .value_kind:     hidden_remainder_y
      - .offset:         118
        .size:           2
        .value_kind:     hidden_remainder_z
      - .offset:         136
        .size:           8
        .value_kind:     hidden_global_offset_x
      - .offset:         144
        .size:           8
        .value_kind:     hidden_global_offset_y
      - .offset:         152
        .size:           8
        .value_kind:     hidden_global_offset_z
      - .offset:         160
        .size:           2
        .value_kind:     hidden_grid_dims
    .group_segment_fixed_size: 0
    .kernarg_segment_align: 8
    .kernarg_segment_size: 352
    .language:       OpenCL C
    .language_version:
      - 2
      - 0
    .max_flat_workgroup_size: 1024
    .name:           _ZL27rocblas_axpy_kernel_batchedIiLi128ELi8EddPKdPdEviT3_lT4_lT_lT5_lS5_li
    .private_segment_fixed_size: 0
    .sgpr_count:     21
    .sgpr_spill_count: 0
    .symbol:         _ZL27rocblas_axpy_kernel_batchedIiLi128ELi8EddPKdPdEviT3_lT4_lT_lT5_lS5_li.kd
    .uniform_work_group_size: 1
    .uses_dynamic_stack: false
    .vgpr_count:     14
    .vgpr_spill_count: 0
    .wavefront_size: 32
  - .args:
      - .offset:         0
        .size:           4
        .value_kind:     by_value
      - .address_space:  global
        .offset:         8
        .size:           8
        .value_kind:     global_buffer
      - .offset:         16
        .size:           8
        .value_kind:     by_value
      - .actual_access:  read_only
        .address_space:  global
        .offset:         24
        .size:           8
        .value_kind:     global_buffer
      - .offset:         32
        .size:           8
        .value_kind:     by_value
      - .offset:         40
        .size:           4
        .value_kind:     by_value
      - .offset:         48
        .size:           8
        .value_kind:     by_value
      - .address_space:  global
        .offset:         56
        .size:           8
        .value_kind:     global_buffer
      - .offset:         64
        .size:           8
        .value_kind:     by_value
      - .offset:         72
        .size:           4
        .value_kind:     by_value
      - .offset:         80
        .size:           8
        .value_kind:     by_value
      - .offset:         88
        .size:           4
        .value_kind:     by_value
    .group_segment_fixed_size: 0
    .kernarg_segment_align: 8
    .kernarg_segment_size: 92
    .language:       OpenCL C
    .language_version:
      - 2
      - 0
    .max_flat_workgroup_size: 256
    .name:           _ZL19rocblas_axpy_kernelIiLi256EdPKdS1_PdEviT2_lT3_lT_lT4_lS5_li
    .private_segment_fixed_size: 0
    .sgpr_count:     28
    .sgpr_spill_count: 0
    .symbol:         _ZL19rocblas_axpy_kernelIiLi256EdPKdS1_PdEviT2_lT3_lT_lT4_lS5_li.kd
    .uniform_work_group_size: 1
    .uses_dynamic_stack: false
    .vgpr_count:     12
    .vgpr_spill_count: 0
    .wavefront_size: 32
  - .args:
      - .offset:         0
        .size:           4
        .value_kind:     by_value
      - .offset:         8
        .size:           8
        .value_kind:     by_value
      - .offset:         16
        .size:           8
        .value_kind:     by_value
      - .actual_access:  read_only
        .address_space:  global
        .offset:         24
        .size:           8
        .value_kind:     global_buffer
      - .offset:         32
        .size:           8
        .value_kind:     by_value
      - .offset:         40
        .size:           4
        .value_kind:     by_value
      - .offset:         48
        .size:           8
        .value_kind:     by_value
      - .address_space:  global
        .offset:         56
        .size:           8
        .value_kind:     global_buffer
      - .offset:         64
        .size:           8
        .value_kind:     by_value
      - .offset:         72
        .size:           4
        .value_kind:     by_value
      - .offset:         80
        .size:           8
        .value_kind:     by_value
      - .offset:         88
        .size:           4
        .value_kind:     by_value
    .group_segment_fixed_size: 0
    .kernarg_segment_align: 8
    .kernarg_segment_size: 92
    .language:       OpenCL C
    .language_version:
      - 2
      - 0
    .max_flat_workgroup_size: 256
    .name:           _ZL19rocblas_axpy_kernelIiLi256EddPKdPdEviT2_lT3_lT_lT4_lS5_li
    .private_segment_fixed_size: 0
    .sgpr_count:     25
    .sgpr_spill_count: 0
    .symbol:         _ZL19rocblas_axpy_kernelIiLi256EddPKdPdEviT2_lT3_lT_lT4_lS5_li.kd
    .uniform_work_group_size: 1
    .uses_dynamic_stack: false
    .vgpr_count:     12
    .vgpr_spill_count: 0
    .wavefront_size: 32
  - .args:
      - .offset:         0
        .size:           4
        .value_kind:     by_value
      - .address_space:  global
        .offset:         8
        .size:           8
        .value_kind:     global_buffer
      - .offset:         16
        .size:           8
        .value_kind:     by_value
      - .actual_access:  read_only
        .address_space:  global
        .offset:         24
        .size:           8
        .value_kind:     global_buffer
      - .offset:         32
        .size:           8
        .value_kind:     by_value
      - .offset:         40
        .size:           8
        .value_kind:     by_value
      - .offset:         48
        .size:           8
        .value_kind:     by_value
      - .address_space:  global
        .offset:         56
        .size:           8
        .value_kind:     global_buffer
      - .offset:         64
        .size:           8
        .value_kind:     by_value
      - .offset:         72
        .size:           8
        .value_kind:     by_value
      - .offset:         80
        .size:           8
        .value_kind:     by_value
      - .offset:         88
        .size:           4
        .value_kind:     by_value
    .group_segment_fixed_size: 0
    .kernarg_segment_align: 8
    .kernarg_segment_size: 92
    .language:       OpenCL C
    .language_version:
      - 2
      - 0
    .max_flat_workgroup_size: 256
    .name:           _ZL19rocblas_axpy_kernelIlLi256EdPKdS1_PdEviT2_lT3_lT_lT4_lS5_li
    .private_segment_fixed_size: 0
    .sgpr_count:     29
    .sgpr_spill_count: 0
    .symbol:         _ZL19rocblas_axpy_kernelIlLi256EdPKdS1_PdEviT2_lT3_lT_lT4_lS5_li.kd
    .uniform_work_group_size: 1
    .uses_dynamic_stack: false
    .vgpr_count:     12
    .vgpr_spill_count: 0
    .wavefront_size: 32
  - .args:
      - .offset:         0
        .size:           4
        .value_kind:     by_value
      - .offset:         8
        .size:           8
        .value_kind:     by_value
      - .offset:         16
        .size:           8
        .value_kind:     by_value
      - .actual_access:  read_only
        .address_space:  global
        .offset:         24
        .size:           8
        .value_kind:     global_buffer
      - .offset:         32
        .size:           8
        .value_kind:     by_value
      - .offset:         40
        .size:           8
        .value_kind:     by_value
      - .offset:         48
        .size:           8
        .value_kind:     by_value
      - .address_space:  global
        .offset:         56
        .size:           8
        .value_kind:     global_buffer
      - .offset:         64
        .size:           8
        .value_kind:     by_value
      - .offset:         72
        .size:           8
        .value_kind:     by_value
      - .offset:         80
        .size:           8
        .value_kind:     by_value
      - .offset:         88
        .size:           4
        .value_kind:     by_value
    .group_segment_fixed_size: 0
    .kernarg_segment_align: 8
    .kernarg_segment_size: 92
    .language:       OpenCL C
    .language_version:
      - 2
      - 0
    .max_flat_workgroup_size: 256
    .name:           _ZL19rocblas_axpy_kernelIlLi256EddPKdPdEviT2_lT3_lT_lT4_lS5_li
    .private_segment_fixed_size: 0
    .sgpr_count:     27
    .sgpr_spill_count: 0
    .symbol:         _ZL19rocblas_axpy_kernelIlLi256EddPKdPdEviT2_lT3_lT_lT4_lS5_li.kd
    .uniform_work_group_size: 1
    .uses_dynamic_stack: false
    .vgpr_count:     12
    .vgpr_spill_count: 0
    .wavefront_size: 32
  - .args:
      - .offset:         0
        .size:           4
        .value_kind:     by_value
      - .address_space:  global
        .offset:         8
        .size:           8
        .value_kind:     global_buffer
      - .offset:         16
        .size:           8
        .value_kind:     by_value
      - .address_space:  global
        .offset:         24
        .size:           8
        .value_kind:     global_buffer
      - .offset:         32
        .size:           8
        .value_kind:     by_value
      - .offset:         40
        .size:           8
        .value_kind:     by_value
      - .address_space:  global
        .offset:         48
        .size:           8
        .value_kind:     global_buffer
      - .offset:         56
        .size:           8
        .value_kind:     by_value
      - .offset:         64
        .size:           8
        .value_kind:     by_value
      - .offset:         72
        .size:           4
        .value_kind:     by_value
    .group_segment_fixed_size: 0
    .kernarg_segment_align: 8
    .kernarg_segment_size: 76
    .language:       OpenCL C
    .language_version:
      - 2
      - 0
    .max_flat_workgroup_size: 256
    .name:           _ZL26rocblas_haxpy_mlt_8_kernelILi256EPKDF16_PK19rocblas_complex_numIfEPS3_EviT0_lT1_llT2_lli
    .private_segment_fixed_size: 0
    .sgpr_count:     27
    .sgpr_spill_count: 0
    .symbol:         _ZL26rocblas_haxpy_mlt_8_kernelILi256EPKDF16_PK19rocblas_complex_numIfEPS3_EviT0_lT1_llT2_lli.kd
    .uniform_work_group_size: 1
    .uses_dynamic_stack: false
    .vgpr_count:     18
    .vgpr_spill_count: 0
    .wavefront_size: 32
  - .args:
      - .offset:         0
        .size:           4
        .value_kind:     by_value
      - .address_space:  global
        .offset:         8
        .size:           8
        .value_kind:     global_buffer
      - .offset:         16
        .size:           8
        .value_kind:     by_value
      - .address_space:  global
        .offset:         24
        .size:           8
        .value_kind:     global_buffer
      - .offset:         32
        .size:           8
        .value_kind:     by_value
      - .offset:         40
        .size:           8
        .value_kind:     by_value
      - .address_space:  global
        .offset:         48
        .size:           8
        .value_kind:     global_buffer
      - .offset:         56
        .size:           8
        .value_kind:     by_value
      - .offset:         64
        .size:           8
        .value_kind:     by_value
      - .offset:         72
        .size:           4
        .value_kind:     by_value
    .group_segment_fixed_size: 0
    .kernarg_segment_align: 8
    .kernarg_segment_size: 76
    .language:       OpenCL C
    .language_version:
      - 2
      - 0
    .max_flat_workgroup_size: 256
    .name:           _ZL26rocblas_haxpy_mod_8_kernelILi256EPK19rocblas_complex_numIfES3_PS1_EviT0_lT1_llT2_lli
    .private_segment_fixed_size: 0
    .sgpr_count:     26
    .sgpr_spill_count: 0
    .symbol:         _ZL26rocblas_haxpy_mod_8_kernelILi256EPK19rocblas_complex_numIfES3_PS1_EviT0_lT1_llT2_lli.kd
    .uniform_work_group_size: 1
    .uses_dynamic_stack: false
    .vgpr_count:     16
    .vgpr_spill_count: 0
    .wavefront_size: 32
  - .args:
      - .offset:         0
        .size:           4
        .value_kind:     by_value
      - .offset:         4
        .size:           2
        .value_kind:     by_value
      - .offset:         8
        .size:           8
        .value_kind:     by_value
      - .address_space:  global
        .offset:         16
        .size:           8
        .value_kind:     global_buffer
      - .offset:         24
        .size:           8
        .value_kind:     by_value
      - .offset:         32
        .size:           8
        .value_kind:     by_value
      - .address_space:  global
        .offset:         40
        .size:           8
        .value_kind:     global_buffer
      - .offset:         48
        .size:           8
        .value_kind:     by_value
      - .offset:         56
        .size:           8
        .value_kind:     by_value
      - .offset:         64
        .size:           4
        .value_kind:     by_value
    .group_segment_fixed_size: 0
    .kernarg_segment_align: 8
    .kernarg_segment_size: 68
    .language:       OpenCL C
    .language_version:
      - 2
      - 0
    .max_flat_workgroup_size: 256
    .name:           _ZL26rocblas_haxpy_mlt_8_kernelILi256EDF16_PK19rocblas_complex_numIfEPS1_EviT0_lT1_llT2_lli
    .private_segment_fixed_size: 0
    .sgpr_count:     22
    .sgpr_spill_count: 0
    .symbol:         _ZL26rocblas_haxpy_mlt_8_kernelILi256EDF16_PK19rocblas_complex_numIfEPS1_EviT0_lT1_llT2_lli.kd
    .uniform_work_group_size: 1
    .uses_dynamic_stack: false
    .vgpr_count:     16
    .vgpr_spill_count: 0
    .wavefront_size: 32
  - .args:
      - .offset:         0
        .size:           4
        .value_kind:     by_value
      - .offset:         4
        .size:           8
        .value_kind:     by_value
      - .offset:         16
        .size:           8
        .value_kind:     by_value
      - .address_space:  global
        .offset:         24
        .size:           8
        .value_kind:     global_buffer
      - .offset:         32
        .size:           8
        .value_kind:     by_value
      - .offset:         40
        .size:           8
        .value_kind:     by_value
      - .address_space:  global
        .offset:         48
        .size:           8
        .value_kind:     global_buffer
      - .offset:         56
        .size:           8
        .value_kind:     by_value
      - .offset:         64
        .size:           8
        .value_kind:     by_value
      - .offset:         72
        .size:           4
        .value_kind:     by_value
    .group_segment_fixed_size: 0
    .kernarg_segment_align: 8
    .kernarg_segment_size: 76
    .language:       OpenCL C
    .language_version:
      - 2
      - 0
    .max_flat_workgroup_size: 256
    .name:           _ZL26rocblas_haxpy_mod_8_kernelILi256E19rocblas_complex_numIfEPKS1_PS1_EviT0_lT1_llT2_lli
    .private_segment_fixed_size: 0
    .sgpr_count:     24
    .sgpr_spill_count: 0
    .symbol:         _ZL26rocblas_haxpy_mod_8_kernelILi256E19rocblas_complex_numIfEPKS1_PS1_EviT0_lT1_llT2_lli.kd
    .uniform_work_group_size: 1
    .uses_dynamic_stack: false
    .vgpr_count:     16
    .vgpr_spill_count: 0
    .wavefront_size: 32
  - .args:
      - .offset:         0
        .size:           4
        .value_kind:     by_value
      - .address_space:  global
        .offset:         8
        .size:           8
        .value_kind:     global_buffer
      - .offset:         16
        .size:           8
        .value_kind:     by_value
      - .actual_access:  read_only
        .address_space:  global
        .offset:         24
        .size:           8
        .value_kind:     global_buffer
      - .offset:         32
        .size:           8
        .value_kind:     by_value
      - .offset:         40
        .size:           8
        .value_kind:     by_value
      - .address_space:  global
        .offset:         48
        .size:           8
        .value_kind:     global_buffer
      - .offset:         56
        .size:           8
        .value_kind:     by_value
      - .offset:         64
        .size:           8
        .value_kind:     by_value
      - .offset:         72
        .size:           4
        .value_kind:     by_value
    .group_segment_fixed_size: 0
    .kernarg_segment_align: 8
    .kernarg_segment_size: 76
    .language:       OpenCL C
    .language_version:
      - 2
      - 0
    .max_flat_workgroup_size: 256
    .name:           _ZL22rocblas_saxpy_2_kernelILi256E19rocblas_complex_numIfEPKS1_S3_PS1_EviT1_lT2_llT3_lli
    .private_segment_fixed_size: 0
    .sgpr_count:     27
    .sgpr_spill_count: 0
    .symbol:         _ZL22rocblas_saxpy_2_kernelILi256E19rocblas_complex_numIfEPKS1_S3_PS1_EviT1_lT2_llT3_lli.kd
    .uniform_work_group_size: 1
    .uses_dynamic_stack: false
    .vgpr_count:     24
    .vgpr_spill_count: 0
    .wavefront_size: 32
  - .args:
      - .offset:         0
        .size:           4
        .value_kind:     by_value
      - .offset:         4
        .size:           8
        .value_kind:     by_value
      - .offset:         16
        .size:           8
        .value_kind:     by_value
      - .actual_access:  read_only
        .address_space:  global
        .offset:         24
        .size:           8
        .value_kind:     global_buffer
      - .offset:         32
        .size:           8
        .value_kind:     by_value
      - .offset:         40
        .size:           8
        .value_kind:     by_value
      - .address_space:  global
        .offset:         48
        .size:           8
        .value_kind:     global_buffer
      - .offset:         56
        .size:           8
        .value_kind:     by_value
      - .offset:         64
        .size:           8
        .value_kind:     by_value
      - .offset:         72
        .size:           4
        .value_kind:     by_value
    .group_segment_fixed_size: 0
    .kernarg_segment_align: 8
    .kernarg_segment_size: 76
    .language:       OpenCL C
    .language_version:
      - 2
      - 0
    .max_flat_workgroup_size: 256
    .name:           _ZL22rocblas_saxpy_2_kernelILi256E19rocblas_complex_numIfES1_PKS1_PS1_EviT1_lT2_llT3_lli
    .private_segment_fixed_size: 0
    .sgpr_count:     28
    .sgpr_spill_count: 0
    .symbol:         _ZL22rocblas_saxpy_2_kernelILi256E19rocblas_complex_numIfES1_PKS1_PS1_EviT1_lT2_llT3_lli.kd
    .uniform_work_group_size: 1
    .uses_dynamic_stack: false
    .vgpr_count:     24
    .vgpr_spill_count: 0
    .wavefront_size: 32
  - .args:
      - .offset:         0
        .size:           4
        .value_kind:     by_value
      - .address_space:  global
        .offset:         8
        .size:           8
        .value_kind:     global_buffer
      - .offset:         16
        .size:           8
        .value_kind:     by_value
      - .address_space:  global
        .offset:         24
        .size:           8
        .value_kind:     global_buffer
      - .offset:         32
        .size:           8
        .value_kind:     by_value
      - .offset:         40
        .size:           4
        .value_kind:     by_value
      - .offset:         48
        .size:           8
        .value_kind:     by_value
      - .address_space:  global
        .offset:         56
        .size:           8
        .value_kind:     global_buffer
      - .offset:         64
        .size:           8
        .value_kind:     by_value
      - .offset:         72
        .size:           4
        .value_kind:     by_value
      - .offset:         80
        .size:           8
        .value_kind:     by_value
      - .offset:         88
        .size:           4
        .value_kind:     by_value
      - .offset:         96
        .size:           4
        .value_kind:     hidden_block_count_x
      - .offset:         100
        .size:           4
        .value_kind:     hidden_block_count_y
      - .offset:         104
        .size:           4
        .value_kind:     hidden_block_count_z
      - .offset:         108
        .size:           2
        .value_kind:     hidden_group_size_x
      - .offset:         110
        .size:           2
        .value_kind:     hidden_group_size_y
      - .offset:         112
        .size:           2
        .value_kind:     hidden_group_size_z
      - .offset:         114
        .size:           2
        .value_kind:     hidden_remainder_x
      - .offset:         116
        .size:           2
        .value_kind:     hidden_remainder_y
      - .offset:         118
        .size:           2
        .value_kind:     hidden_remainder_z
      - .offset:         136
        .size:           8
        .value_kind:     hidden_global_offset_x
      - .offset:         144
        .size:           8
        .value_kind:     hidden_global_offset_y
      - .offset:         152
        .size:           8
        .value_kind:     hidden_global_offset_z
      - .offset:         160
        .size:           2
        .value_kind:     hidden_grid_dims
    .group_segment_fixed_size: 0
    .kernarg_segment_align: 8
    .kernarg_segment_size: 352
    .language:       OpenCL C
    .language_version:
      - 2
      - 0
    .max_flat_workgroup_size: 1024
    .name:           _ZL27rocblas_axpy_kernel_batchedIiLi128ELi8E19rocblas_complex_numIfEPKS1_S3_PS1_EviT3_lT4_lT_lT5_lS7_li
    .private_segment_fixed_size: 0
    .sgpr_count:     25
    .sgpr_spill_count: 0
    .symbol:         _ZL27rocblas_axpy_kernel_batchedIiLi128ELi8E19rocblas_complex_numIfEPKS1_S3_PS1_EviT3_lT4_lT_lT5_lS7_li.kd
    .uniform_work_group_size: 1
    .uses_dynamic_stack: false
    .vgpr_count:     18
    .vgpr_spill_count: 0
    .wavefront_size: 32
  - .args:
      - .offset:         0
        .size:           4
        .value_kind:     by_value
      - .offset:         4
        .size:           8
        .value_kind:     by_value
      - .offset:         16
        .size:           8
        .value_kind:     by_value
      - .address_space:  global
        .offset:         24
        .size:           8
        .value_kind:     global_buffer
      - .offset:         32
        .size:           8
        .value_kind:     by_value
      - .offset:         40
        .size:           4
        .value_kind:     by_value
      - .offset:         48
        .size:           8
        .value_kind:     by_value
      - .address_space:  global
        .offset:         56
        .size:           8
        .value_kind:     global_buffer
      - .offset:         64
        .size:           8
        .value_kind:     by_value
      - .offset:         72
        .size:           4
        .value_kind:     by_value
      - .offset:         80
        .size:           8
        .value_kind:     by_value
      - .offset:         88
        .size:           4
        .value_kind:     by_value
      - .offset:         96
        .size:           4
        .value_kind:     hidden_block_count_x
      - .offset:         100
        .size:           4
        .value_kind:     hidden_block_count_y
      - .offset:         104
        .size:           4
        .value_kind:     hidden_block_count_z
      - .offset:         108
        .size:           2
        .value_kind:     hidden_group_size_x
      - .offset:         110
        .size:           2
        .value_kind:     hidden_group_size_y
      - .offset:         112
        .size:           2
        .value_kind:     hidden_group_size_z
      - .offset:         114
        .size:           2
        .value_kind:     hidden_remainder_x
      - .offset:         116
        .size:           2
        .value_kind:     hidden_remainder_y
      - .offset:         118
        .size:           2
        .value_kind:     hidden_remainder_z
      - .offset:         136
        .size:           8
        .value_kind:     hidden_global_offset_x
      - .offset:         144
        .size:           8
        .value_kind:     hidden_global_offset_y
      - .offset:         152
        .size:           8
        .value_kind:     hidden_global_offset_z
      - .offset:         160
        .size:           2
        .value_kind:     hidden_grid_dims
    .group_segment_fixed_size: 0
    .kernarg_segment_align: 8
    .kernarg_segment_size: 352
    .language:       OpenCL C
    .language_version:
      - 2
      - 0
    .max_flat_workgroup_size: 1024
    .name:           _ZL27rocblas_axpy_kernel_batchedIiLi128ELi8E19rocblas_complex_numIfES1_PKS1_PS1_EviT3_lT4_lT_lT5_lS7_li
    .private_segment_fixed_size: 0
    .sgpr_count:     25
    .sgpr_spill_count: 0
    .symbol:         _ZL27rocblas_axpy_kernel_batchedIiLi128ELi8E19rocblas_complex_numIfES1_PKS1_PS1_EviT3_lT4_lT_lT5_lS7_li.kd
    .uniform_work_group_size: 1
    .uses_dynamic_stack: false
    .vgpr_count:     18
    .vgpr_spill_count: 0
    .wavefront_size: 32
  - .args:
      - .offset:         0
        .size:           4
        .value_kind:     by_value
      - .address_space:  global
        .offset:         8
        .size:           8
        .value_kind:     global_buffer
      - .offset:         16
        .size:           8
        .value_kind:     by_value
      - .actual_access:  read_only
        .address_space:  global
        .offset:         24
        .size:           8
        .value_kind:     global_buffer
      - .offset:         32
        .size:           8
        .value_kind:     by_value
      - .offset:         40
        .size:           4
        .value_kind:     by_value
      - .offset:         48
        .size:           8
        .value_kind:     by_value
      - .address_space:  global
        .offset:         56
        .size:           8
        .value_kind:     global_buffer
      - .offset:         64
        .size:           8
        .value_kind:     by_value
      - .offset:         72
        .size:           4
        .value_kind:     by_value
      - .offset:         80
        .size:           8
        .value_kind:     by_value
      - .offset:         88
        .size:           4
        .value_kind:     by_value
    .group_segment_fixed_size: 0
    .kernarg_segment_align: 8
    .kernarg_segment_size: 92
    .language:       OpenCL C
    .language_version:
      - 2
      - 0
    .max_flat_workgroup_size: 256
    .name:           _ZL19rocblas_axpy_kernelIiLi256E19rocblas_complex_numIfEPKS1_S3_PS1_EviT2_lT3_lT_lT4_lS7_li
    .private_segment_fixed_size: 0
    .sgpr_count:     28
    .sgpr_spill_count: 0
    .symbol:         _ZL19rocblas_axpy_kernelIiLi256E19rocblas_complex_numIfEPKS1_S3_PS1_EviT2_lT3_lT_lT4_lS7_li.kd
    .uniform_work_group_size: 1
    .uses_dynamic_stack: false
    .vgpr_count:     16
    .vgpr_spill_count: 0
    .wavefront_size: 32
  - .args:
      - .offset:         0
        .size:           4
        .value_kind:     by_value
      - .offset:         4
        .size:           8
        .value_kind:     by_value
      - .offset:         16
        .size:           8
        .value_kind:     by_value
      - .actual_access:  read_only
        .address_space:  global
        .offset:         24
        .size:           8
        .value_kind:     global_buffer
      - .offset:         32
        .size:           8
        .value_kind:     by_value
      - .offset:         40
        .size:           4
        .value_kind:     by_value
      - .offset:         48
        .size:           8
        .value_kind:     by_value
      - .address_space:  global
        .offset:         56
        .size:           8
        .value_kind:     global_buffer
      - .offset:         64
        .size:           8
        .value_kind:     by_value
      - .offset:         72
        .size:           4
        .value_kind:     by_value
      - .offset:         80
        .size:           8
        .value_kind:     by_value
      - .offset:         88
        .size:           4
        .value_kind:     by_value
    .group_segment_fixed_size: 0
    .kernarg_segment_align: 8
    .kernarg_segment_size: 92
    .language:       OpenCL C
    .language_version:
      - 2
      - 0
    .max_flat_workgroup_size: 256
    .name:           _ZL19rocblas_axpy_kernelIiLi256E19rocblas_complex_numIfES1_PKS1_PS1_EviT2_lT3_lT_lT4_lS7_li
    .private_segment_fixed_size: 0
    .sgpr_count:     25
    .sgpr_spill_count: 0
    .symbol:         _ZL19rocblas_axpy_kernelIiLi256E19rocblas_complex_numIfES1_PKS1_PS1_EviT2_lT3_lT_lT4_lS7_li.kd
    .uniform_work_group_size: 1
    .uses_dynamic_stack: false
    .vgpr_count:     16
    .vgpr_spill_count: 0
    .wavefront_size: 32
  - .args:
      - .offset:         0
        .size:           4
        .value_kind:     by_value
      - .address_space:  global
        .offset:         8
        .size:           8
        .value_kind:     global_buffer
      - .offset:         16
        .size:           8
        .value_kind:     by_value
      - .actual_access:  read_only
        .address_space:  global
        .offset:         24
        .size:           8
        .value_kind:     global_buffer
      - .offset:         32
        .size:           8
        .value_kind:     by_value
      - .offset:         40
        .size:           8
        .value_kind:     by_value
      - .offset:         48
        .size:           8
        .value_kind:     by_value
      - .address_space:  global
        .offset:         56
        .size:           8
        .value_kind:     global_buffer
      - .offset:         64
        .size:           8
        .value_kind:     by_value
      - .offset:         72
        .size:           8
        .value_kind:     by_value
      - .offset:         80
        .size:           8
        .value_kind:     by_value
      - .offset:         88
        .size:           4
        .value_kind:     by_value
    .group_segment_fixed_size: 0
    .kernarg_segment_align: 8
    .kernarg_segment_size: 92
    .language:       OpenCL C
    .language_version:
      - 2
      - 0
    .max_flat_workgroup_size: 256
    .name:           _ZL19rocblas_axpy_kernelIlLi256E19rocblas_complex_numIfEPKS1_S3_PS1_EviT2_lT3_lT_lT4_lS7_li
    .private_segment_fixed_size: 0
    .sgpr_count:     29
    .sgpr_spill_count: 0
    .symbol:         _ZL19rocblas_axpy_kernelIlLi256E19rocblas_complex_numIfEPKS1_S3_PS1_EviT2_lT3_lT_lT4_lS7_li.kd
    .uniform_work_group_size: 1
    .uses_dynamic_stack: false
    .vgpr_count:     16
    .vgpr_spill_count: 0
    .wavefront_size: 32
  - .args:
      - .offset:         0
        .size:           4
        .value_kind:     by_value
      - .offset:         4
        .size:           8
        .value_kind:     by_value
      - .offset:         16
        .size:           8
        .value_kind:     by_value
      - .actual_access:  read_only
        .address_space:  global
        .offset:         24
        .size:           8
        .value_kind:     global_buffer
      - .offset:         32
        .size:           8
        .value_kind:     by_value
      - .offset:         40
        .size:           8
        .value_kind:     by_value
      - .offset:         48
        .size:           8
        .value_kind:     by_value
      - .address_space:  global
        .offset:         56
        .size:           8
        .value_kind:     global_buffer
      - .offset:         64
        .size:           8
        .value_kind:     by_value
      - .offset:         72
        .size:           8
        .value_kind:     by_value
      - .offset:         80
        .size:           8
        .value_kind:     by_value
      - .offset:         88
        .size:           4
        .value_kind:     by_value
    .group_segment_fixed_size: 0
    .kernarg_segment_align: 8
    .kernarg_segment_size: 92
    .language:       OpenCL C
    .language_version:
      - 2
      - 0
    .max_flat_workgroup_size: 256
    .name:           _ZL19rocblas_axpy_kernelIlLi256E19rocblas_complex_numIfES1_PKS1_PS1_EviT2_lT3_lT_lT4_lS7_li
    .private_segment_fixed_size: 0
    .sgpr_count:     27
    .sgpr_spill_count: 0
    .symbol:         _ZL19rocblas_axpy_kernelIlLi256E19rocblas_complex_numIfES1_PKS1_PS1_EviT2_lT3_lT_lT4_lS7_li.kd
    .uniform_work_group_size: 1
    .uses_dynamic_stack: false
    .vgpr_count:     16
    .vgpr_spill_count: 0
    .wavefront_size: 32
  - .args:
      - .offset:         0
        .size:           4
        .value_kind:     by_value
      - .address_space:  global
        .offset:         8
        .size:           8
        .value_kind:     global_buffer
      - .offset:         16
        .size:           8
        .value_kind:     by_value
      - .address_space:  global
        .offset:         24
        .size:           8
        .value_kind:     global_buffer
      - .offset:         32
        .size:           8
        .value_kind:     by_value
      - .offset:         40
        .size:           8
        .value_kind:     by_value
      - .address_space:  global
        .offset:         48
        .size:           8
        .value_kind:     global_buffer
      - .offset:         56
        .size:           8
        .value_kind:     by_value
      - .offset:         64
        .size:           8
        .value_kind:     by_value
      - .offset:         72
        .size:           4
        .value_kind:     by_value
    .group_segment_fixed_size: 0
    .kernarg_segment_align: 8
    .kernarg_segment_size: 76
    .language:       OpenCL C
    .language_version:
      - 2
      - 0
    .max_flat_workgroup_size: 256
    .name:           _ZL26rocblas_haxpy_mlt_8_kernelILi256EPKDF16_PK19rocblas_complex_numIdEPS3_EviT0_lT1_llT2_lli
    .private_segment_fixed_size: 0
    .sgpr_count:     27
    .sgpr_spill_count: 0
    .symbol:         _ZL26rocblas_haxpy_mlt_8_kernelILi256EPKDF16_PK19rocblas_complex_numIdEPS3_EviT0_lT1_llT2_lli.kd
    .uniform_work_group_size: 1
    .uses_dynamic_stack: false
    .vgpr_count:     18
    .vgpr_spill_count: 0
    .wavefront_size: 32
  - .args:
      - .offset:         0
        .size:           4
        .value_kind:     by_value
      - .address_space:  global
        .offset:         8
        .size:           8
        .value_kind:     global_buffer
      - .offset:         16
        .size:           8
        .value_kind:     by_value
      - .address_space:  global
        .offset:         24
        .size:           8
        .value_kind:     global_buffer
      - .offset:         32
        .size:           8
        .value_kind:     by_value
      - .offset:         40
        .size:           8
        .value_kind:     by_value
      - .address_space:  global
        .offset:         48
        .size:           8
        .value_kind:     global_buffer
      - .offset:         56
        .size:           8
        .value_kind:     by_value
      - .offset:         64
        .size:           8
        .value_kind:     by_value
      - .offset:         72
        .size:           4
        .value_kind:     by_value
    .group_segment_fixed_size: 0
    .kernarg_segment_align: 8
    .kernarg_segment_size: 76
    .language:       OpenCL C
    .language_version:
      - 2
      - 0
    .max_flat_workgroup_size: 256
    .name:           _ZL26rocblas_haxpy_mod_8_kernelILi256EPK19rocblas_complex_numIdES3_PS1_EviT0_lT1_llT2_lli
    .private_segment_fixed_size: 0
    .sgpr_count:     26
    .sgpr_spill_count: 0
    .symbol:         _ZL26rocblas_haxpy_mod_8_kernelILi256EPK19rocblas_complex_numIdES3_PS1_EviT0_lT1_llT2_lli.kd
    .uniform_work_group_size: 1
    .uses_dynamic_stack: false
    .vgpr_count:     22
    .vgpr_spill_count: 0
    .wavefront_size: 32
  - .args:
      - .offset:         0
        .size:           4
        .value_kind:     by_value
      - .offset:         4
        .size:           2
        .value_kind:     by_value
      - .offset:         8
        .size:           8
        .value_kind:     by_value
      - .address_space:  global
        .offset:         16
        .size:           8
        .value_kind:     global_buffer
      - .offset:         24
        .size:           8
        .value_kind:     by_value
      - .offset:         32
        .size:           8
        .value_kind:     by_value
      - .address_space:  global
        .offset:         40
        .size:           8
        .value_kind:     global_buffer
      - .offset:         48
        .size:           8
        .value_kind:     by_value
      - .offset:         56
        .size:           8
        .value_kind:     by_value
      - .offset:         64
        .size:           4
        .value_kind:     by_value
    .group_segment_fixed_size: 0
    .kernarg_segment_align: 8
    .kernarg_segment_size: 68
    .language:       OpenCL C
    .language_version:
      - 2
      - 0
    .max_flat_workgroup_size: 256
    .name:           _ZL26rocblas_haxpy_mlt_8_kernelILi256EDF16_PK19rocblas_complex_numIdEPS1_EviT0_lT1_llT2_lli
    .private_segment_fixed_size: 0
    .sgpr_count:     22
    .sgpr_spill_count: 0
    .symbol:         _ZL26rocblas_haxpy_mlt_8_kernelILi256EDF16_PK19rocblas_complex_numIdEPS1_EviT0_lT1_llT2_lli.kd
    .uniform_work_group_size: 1
    .uses_dynamic_stack: false
    .vgpr_count:     16
    .vgpr_spill_count: 0
    .wavefront_size: 32
  - .args:
      - .offset:         0
        .size:           4
        .value_kind:     by_value
      - .offset:         8
        .size:           16
        .value_kind:     by_value
      - .offset:         24
        .size:           8
        .value_kind:     by_value
      - .address_space:  global
        .offset:         32
        .size:           8
        .value_kind:     global_buffer
      - .offset:         40
        .size:           8
        .value_kind:     by_value
      - .offset:         48
        .size:           8
        .value_kind:     by_value
      - .address_space:  global
        .offset:         56
        .size:           8
        .value_kind:     global_buffer
      - .offset:         64
        .size:           8
        .value_kind:     by_value
      - .offset:         72
        .size:           8
        .value_kind:     by_value
      - .offset:         80
        .size:           4
        .value_kind:     by_value
    .group_segment_fixed_size: 0
    .kernarg_segment_align: 8
    .kernarg_segment_size: 84
    .language:       OpenCL C
    .language_version:
      - 2
      - 0
    .max_flat_workgroup_size: 256
    .name:           _ZL26rocblas_haxpy_mod_8_kernelILi256E19rocblas_complex_numIdEPKS1_PS1_EviT0_lT1_llT2_lli
    .private_segment_fixed_size: 0
    .sgpr_count:     28
    .sgpr_spill_count: 0
    .symbol:         _ZL26rocblas_haxpy_mod_8_kernelILi256E19rocblas_complex_numIdEPKS1_PS1_EviT0_lT1_llT2_lli.kd
    .uniform_work_group_size: 1
    .uses_dynamic_stack: false
    .vgpr_count:     16
    .vgpr_spill_count: 0
    .wavefront_size: 32
  - .args:
      - .offset:         0
        .size:           4
        .value_kind:     by_value
      - .address_space:  global
        .offset:         8
        .size:           8
        .value_kind:     global_buffer
      - .offset:         16
        .size:           8
        .value_kind:     by_value
      - .actual_access:  read_only
        .address_space:  global
        .offset:         24
        .size:           8
        .value_kind:     global_buffer
      - .offset:         32
        .size:           8
        .value_kind:     by_value
      - .offset:         40
        .size:           8
        .value_kind:     by_value
      - .address_space:  global
        .offset:         48
        .size:           8
        .value_kind:     global_buffer
      - .offset:         56
        .size:           8
        .value_kind:     by_value
      - .offset:         64
        .size:           8
        .value_kind:     by_value
      - .offset:         72
        .size:           4
        .value_kind:     by_value
    .group_segment_fixed_size: 0
    .kernarg_segment_align: 8
    .kernarg_segment_size: 76
    .language:       OpenCL C
    .language_version:
      - 2
      - 0
    .max_flat_workgroup_size: 256
    .name:           _ZL22rocblas_saxpy_2_kernelILi256E19rocblas_complex_numIdEPKS1_S3_PS1_EviT1_lT2_llT3_lli
    .private_segment_fixed_size: 0
    .sgpr_count:     28
    .sgpr_spill_count: 0
    .symbol:         _ZL22rocblas_saxpy_2_kernelILi256E19rocblas_complex_numIdEPKS1_S3_PS1_EviT1_lT2_llT3_lli.kd
    .uniform_work_group_size: 1
    .uses_dynamic_stack: false
    .vgpr_count:     26
    .vgpr_spill_count: 0
    .wavefront_size: 32
  - .args:
      - .offset:         0
        .size:           4
        .value_kind:     by_value
      - .offset:         8
        .size:           16
        .value_kind:     by_value
      - .offset:         24
        .size:           8
        .value_kind:     by_value
      - .actual_access:  read_only
        .address_space:  global
        .offset:         32
        .size:           8
        .value_kind:     global_buffer
      - .offset:         40
        .size:           8
        .value_kind:     by_value
      - .offset:         48
        .size:           8
        .value_kind:     by_value
      - .address_space:  global
        .offset:         56
        .size:           8
        .value_kind:     global_buffer
      - .offset:         64
        .size:           8
        .value_kind:     by_value
      - .offset:         72
        .size:           8
        .value_kind:     by_value
      - .offset:         80
        .size:           4
        .value_kind:     by_value
    .group_segment_fixed_size: 0
    .kernarg_segment_align: 8
    .kernarg_segment_size: 84
    .language:       OpenCL C
    .language_version:
      - 2
      - 0
    .max_flat_workgroup_size: 256
    .name:           _ZL22rocblas_saxpy_2_kernelILi256E19rocblas_complex_numIdES1_PKS1_PS1_EviT1_lT2_llT3_lli
    .private_segment_fixed_size: 0
    .sgpr_count:     29
    .sgpr_spill_count: 0
    .symbol:         _ZL22rocblas_saxpy_2_kernelILi256E19rocblas_complex_numIdES1_PKS1_PS1_EviT1_lT2_llT3_lli.kd
    .uniform_work_group_size: 1
    .uses_dynamic_stack: false
    .vgpr_count:     26
    .vgpr_spill_count: 0
    .wavefront_size: 32
  - .args:
      - .offset:         0
        .size:           4
        .value_kind:     by_value
      - .address_space:  global
        .offset:         8
        .size:           8
        .value_kind:     global_buffer
      - .offset:         16
        .size:           8
        .value_kind:     by_value
      - .address_space:  global
        .offset:         24
        .size:           8
        .value_kind:     global_buffer
      - .offset:         32
        .size:           8
        .value_kind:     by_value
      - .offset:         40
        .size:           4
        .value_kind:     by_value
      - .offset:         48
        .size:           8
        .value_kind:     by_value
      - .address_space:  global
        .offset:         56
        .size:           8
        .value_kind:     global_buffer
      - .offset:         64
        .size:           8
        .value_kind:     by_value
      - .offset:         72
        .size:           4
        .value_kind:     by_value
      - .offset:         80
        .size:           8
        .value_kind:     by_value
      - .offset:         88
        .size:           4
        .value_kind:     by_value
      - .offset:         96
        .size:           4
        .value_kind:     hidden_block_count_x
      - .offset:         100
        .size:           4
        .value_kind:     hidden_block_count_y
      - .offset:         104
        .size:           4
        .value_kind:     hidden_block_count_z
      - .offset:         108
        .size:           2
        .value_kind:     hidden_group_size_x
      - .offset:         110
        .size:           2
        .value_kind:     hidden_group_size_y
      - .offset:         112
        .size:           2
        .value_kind:     hidden_group_size_z
      - .offset:         114
        .size:           2
        .value_kind:     hidden_remainder_x
      - .offset:         116
        .size:           2
        .value_kind:     hidden_remainder_y
      - .offset:         118
        .size:           2
        .value_kind:     hidden_remainder_z
      - .offset:         136
        .size:           8
        .value_kind:     hidden_global_offset_x
      - .offset:         144
        .size:           8
        .value_kind:     hidden_global_offset_y
      - .offset:         152
        .size:           8
        .value_kind:     hidden_global_offset_z
      - .offset:         160
        .size:           2
        .value_kind:     hidden_grid_dims
    .group_segment_fixed_size: 0
    .kernarg_segment_align: 8
    .kernarg_segment_size: 352
    .language:       OpenCL C
    .language_version:
      - 2
      - 0
    .max_flat_workgroup_size: 1024
    .name:           _ZL27rocblas_axpy_kernel_batchedIiLi128ELi8E19rocblas_complex_numIdEPKS1_S3_PS1_EviT3_lT4_lT_lT5_lS7_li
    .private_segment_fixed_size: 0
    .sgpr_count:     25
    .sgpr_spill_count: 0
    .symbol:         _ZL27rocblas_axpy_kernel_batchedIiLi128ELi8E19rocblas_complex_numIdEPKS1_S3_PS1_EviT3_lT4_lT_lT5_lS7_li.kd
    .uniform_work_group_size: 1
    .uses_dynamic_stack: false
    .vgpr_count:     22
    .vgpr_spill_count: 0
    .wavefront_size: 32
  - .args:
      - .offset:         0
        .size:           4
        .value_kind:     by_value
      - .offset:         8
        .size:           16
        .value_kind:     by_value
      - .offset:         24
        .size:           8
        .value_kind:     by_value
      - .address_space:  global
        .offset:         32
        .size:           8
        .value_kind:     global_buffer
      - .offset:         40
        .size:           8
        .value_kind:     by_value
      - .offset:         48
        .size:           4
        .value_kind:     by_value
      - .offset:         56
        .size:           8
        .value_kind:     by_value
      - .address_space:  global
        .offset:         64
        .size:           8
        .value_kind:     global_buffer
      - .offset:         72
        .size:           8
        .value_kind:     by_value
      - .offset:         80
        .size:           4
        .value_kind:     by_value
      - .offset:         88
        .size:           8
        .value_kind:     by_value
      - .offset:         96
        .size:           4
        .value_kind:     by_value
      - .offset:         104
        .size:           4
        .value_kind:     hidden_block_count_x
      - .offset:         108
        .size:           4
        .value_kind:     hidden_block_count_y
      - .offset:         112
        .size:           4
        .value_kind:     hidden_block_count_z
      - .offset:         116
        .size:           2
        .value_kind:     hidden_group_size_x
      - .offset:         118
        .size:           2
        .value_kind:     hidden_group_size_y
      - .offset:         120
        .size:           2
        .value_kind:     hidden_group_size_z
      - .offset:         122
        .size:           2
        .value_kind:     hidden_remainder_x
      - .offset:         124
        .size:           2
        .value_kind:     hidden_remainder_y
      - .offset:         126
        .size:           2
        .value_kind:     hidden_remainder_z
      - .offset:         144
        .size:           8
        .value_kind:     hidden_global_offset_x
      - .offset:         152
        .size:           8
        .value_kind:     hidden_global_offset_y
      - .offset:         160
        .size:           8
        .value_kind:     hidden_global_offset_z
      - .offset:         168
        .size:           2
        .value_kind:     hidden_grid_dims
    .group_segment_fixed_size: 0
    .kernarg_segment_align: 8
    .kernarg_segment_size: 360
    .language:       OpenCL C
    .language_version:
      - 2
      - 0
    .max_flat_workgroup_size: 1024
    .name:           _ZL27rocblas_axpy_kernel_batchedIiLi128ELi8E19rocblas_complex_numIdES1_PKS1_PS1_EviT3_lT4_lT_lT5_lS7_li
    .private_segment_fixed_size: 0
    .sgpr_count:     26
    .sgpr_spill_count: 0
    .symbol:         _ZL27rocblas_axpy_kernel_batchedIiLi128ELi8E19rocblas_complex_numIdES1_PKS1_PS1_EviT3_lT4_lT_lT5_lS7_li.kd
    .uniform_work_group_size: 1
    .uses_dynamic_stack: false
    .vgpr_count:     18
    .vgpr_spill_count: 0
    .wavefront_size: 32
  - .args:
      - .offset:         0
        .size:           4
        .value_kind:     by_value
      - .address_space:  global
        .offset:         8
        .size:           8
        .value_kind:     global_buffer
      - .offset:         16
        .size:           8
        .value_kind:     by_value
      - .actual_access:  read_only
        .address_space:  global
        .offset:         24
        .size:           8
        .value_kind:     global_buffer
      - .offset:         32
        .size:           8
        .value_kind:     by_value
      - .offset:         40
        .size:           4
        .value_kind:     by_value
      - .offset:         48
        .size:           8
        .value_kind:     by_value
      - .address_space:  global
        .offset:         56
        .size:           8
        .value_kind:     global_buffer
      - .offset:         64
        .size:           8
        .value_kind:     by_value
      - .offset:         72
        .size:           4
        .value_kind:     by_value
      - .offset:         80
        .size:           8
        .value_kind:     by_value
      - .offset:         88
        .size:           4
        .value_kind:     by_value
    .group_segment_fixed_size: 0
    .kernarg_segment_align: 8
    .kernarg_segment_size: 92
    .language:       OpenCL C
    .language_version:
      - 2
      - 0
    .max_flat_workgroup_size: 256
    .name:           _ZL19rocblas_axpy_kernelIiLi256E19rocblas_complex_numIdEPKS1_S3_PS1_EviT2_lT3_lT_lT4_lS7_li
    .private_segment_fixed_size: 0
    .sgpr_count:     30
    .sgpr_spill_count: 0
    .symbol:         _ZL19rocblas_axpy_kernelIiLi256E19rocblas_complex_numIdEPKS1_S3_PS1_EviT2_lT3_lT_lT4_lS7_li.kd
    .uniform_work_group_size: 1
    .uses_dynamic_stack: false
    .vgpr_count:     16
    .vgpr_spill_count: 0
    .wavefront_size: 32
  - .args:
      - .offset:         0
        .size:           4
        .value_kind:     by_value
      - .offset:         8
        .size:           16
        .value_kind:     by_value
      - .offset:         24
        .size:           8
        .value_kind:     by_value
      - .actual_access:  read_only
        .address_space:  global
        .offset:         32
        .size:           8
        .value_kind:     global_buffer
      - .offset:         40
        .size:           8
        .value_kind:     by_value
      - .offset:         48
        .size:           4
        .value_kind:     by_value
      - .offset:         56
        .size:           8
        .value_kind:     by_value
      - .address_space:  global
        .offset:         64
        .size:           8
        .value_kind:     global_buffer
      - .offset:         72
        .size:           8
        .value_kind:     by_value
      - .offset:         80
        .size:           4
        .value_kind:     by_value
      - .offset:         88
        .size:           8
        .value_kind:     by_value
      - .offset:         96
        .size:           4
        .value_kind:     by_value
    .group_segment_fixed_size: 0
    .kernarg_segment_align: 8
    .kernarg_segment_size: 100
    .language:       OpenCL C
    .language_version:
      - 2
      - 0
    .max_flat_workgroup_size: 256
    .name:           _ZL19rocblas_axpy_kernelIiLi256E19rocblas_complex_numIdES1_PKS1_PS1_EviT2_lT3_lT_lT4_lS7_li
    .private_segment_fixed_size: 0
    .sgpr_count:     28
    .sgpr_spill_count: 0
    .symbol:         _ZL19rocblas_axpy_kernelIiLi256E19rocblas_complex_numIdES1_PKS1_PS1_EviT2_lT3_lT_lT4_lS7_li.kd
    .uniform_work_group_size: 1
    .uses_dynamic_stack: false
    .vgpr_count:     16
    .vgpr_spill_count: 0
    .wavefront_size: 32
  - .args:
      - .offset:         0
        .size:           4
        .value_kind:     by_value
      - .address_space:  global
        .offset:         8
        .size:           8
        .value_kind:     global_buffer
      - .offset:         16
        .size:           8
        .value_kind:     by_value
      - .actual_access:  read_only
        .address_space:  global
        .offset:         24
        .size:           8
        .value_kind:     global_buffer
      - .offset:         32
        .size:           8
        .value_kind:     by_value
      - .offset:         40
        .size:           8
        .value_kind:     by_value
      - .offset:         48
        .size:           8
        .value_kind:     by_value
      - .address_space:  global
        .offset:         56
        .size:           8
        .value_kind:     global_buffer
      - .offset:         64
        .size:           8
        .value_kind:     by_value
      - .offset:         72
        .size:           8
        .value_kind:     by_value
      - .offset:         80
        .size:           8
        .value_kind:     by_value
      - .offset:         88
        .size:           4
        .value_kind:     by_value
    .group_segment_fixed_size: 0
    .kernarg_segment_align: 8
    .kernarg_segment_size: 92
    .language:       OpenCL C
    .language_version:
      - 2
      - 0
    .max_flat_workgroup_size: 256
    .name:           _ZL19rocblas_axpy_kernelIlLi256E19rocblas_complex_numIdEPKS1_S3_PS1_EviT2_lT3_lT_lT4_lS7_li
    .private_segment_fixed_size: 0
    .sgpr_count:     30
    .sgpr_spill_count: 0
    .symbol:         _ZL19rocblas_axpy_kernelIlLi256E19rocblas_complex_numIdEPKS1_S3_PS1_EviT2_lT3_lT_lT4_lS7_li.kd
    .uniform_work_group_size: 1
    .uses_dynamic_stack: false
    .vgpr_count:     16
    .vgpr_spill_count: 0
    .wavefront_size: 32
  - .args:
      - .offset:         0
        .size:           4
        .value_kind:     by_value
      - .offset:         8
        .size:           16
        .value_kind:     by_value
      - .offset:         24
        .size:           8
        .value_kind:     by_value
      - .actual_access:  read_only
        .address_space:  global
        .offset:         32
        .size:           8
        .value_kind:     global_buffer
      - .offset:         40
        .size:           8
        .value_kind:     by_value
      - .offset:         48
        .size:           8
        .value_kind:     by_value
      - .offset:         56
        .size:           8
        .value_kind:     by_value
      - .address_space:  global
        .offset:         64
        .size:           8
        .value_kind:     global_buffer
      - .offset:         72
        .size:           8
        .value_kind:     by_value
      - .offset:         80
        .size:           8
        .value_kind:     by_value
      - .offset:         88
        .size:           8
        .value_kind:     by_value
      - .offset:         96
        .size:           4
        .value_kind:     by_value
    .group_segment_fixed_size: 0
    .kernarg_segment_align: 8
    .kernarg_segment_size: 100
    .language:       OpenCL C
    .language_version:
      - 2
      - 0
    .max_flat_workgroup_size: 256
    .name:           _ZL19rocblas_axpy_kernelIlLi256E19rocblas_complex_numIdES1_PKS1_PS1_EviT2_lT3_lT_lT4_lS7_li
    .private_segment_fixed_size: 0
    .sgpr_count:     29
    .sgpr_spill_count: 0
    .symbol:         _ZL19rocblas_axpy_kernelIlLi256E19rocblas_complex_numIdES1_PKS1_PS1_EviT2_lT3_lT_lT4_lS7_li.kd
    .uniform_work_group_size: 1
    .uses_dynamic_stack: false
    .vgpr_count:     16
    .vgpr_spill_count: 0
    .wavefront_size: 32
  - .args:
      - .offset:         0
        .size:           4
        .value_kind:     by_value
      - .address_space:  global
        .offset:         8
        .size:           8
        .value_kind:     global_buffer
      - .offset:         16
        .size:           8
        .value_kind:     by_value
      - .address_space:  global
        .offset:         24
        .size:           8
        .value_kind:     global_buffer
      - .offset:         32
        .size:           8
        .value_kind:     by_value
      - .offset:         40
        .size:           8
        .value_kind:     by_value
      - .address_space:  global
        .offset:         48
        .size:           8
        .value_kind:     global_buffer
      - .offset:         56
        .size:           8
        .value_kind:     by_value
      - .offset:         64
        .size:           8
        .value_kind:     by_value
      - .offset:         72
        .size:           4
        .value_kind:     by_value
    .group_segment_fixed_size: 0
    .kernarg_segment_align: 8
    .kernarg_segment_size: 76
    .language:       OpenCL C
    .language_version:
      - 2
      - 0
    .max_flat_workgroup_size: 256
    .name:           _ZL26rocblas_haxpy_mlt_8_kernelILi256EPKDF16_PKS1_PKPDF16_EviT0_lT1_llT2_lli
    .private_segment_fixed_size: 0
    .sgpr_count:     24
    .sgpr_spill_count: 0
    .symbol:         _ZL26rocblas_haxpy_mlt_8_kernelILi256EPKDF16_PKS1_PKPDF16_EviT0_lT1_llT2_lli.kd
    .uniform_work_group_size: 1
    .uses_dynamic_stack: false
    .vgpr_count:     16
    .vgpr_spill_count: 0
    .wavefront_size: 32
  - .args:
      - .offset:         0
        .size:           4
        .value_kind:     by_value
      - .address_space:  global
        .offset:         8
        .size:           8
        .value_kind:     global_buffer
      - .offset:         16
        .size:           8
        .value_kind:     by_value
      - .address_space:  global
        .offset:         24
        .size:           8
        .value_kind:     global_buffer
      - .offset:         32
        .size:           8
        .value_kind:     by_value
      - .offset:         40
        .size:           8
        .value_kind:     by_value
      - .address_space:  global
        .offset:         48
        .size:           8
        .value_kind:     global_buffer
      - .offset:         56
        .size:           8
        .value_kind:     by_value
      - .offset:         64
        .size:           8
        .value_kind:     by_value
      - .offset:         72
        .size:           4
        .value_kind:     by_value
    .group_segment_fixed_size: 0
    .kernarg_segment_align: 8
    .kernarg_segment_size: 76
    .language:       OpenCL C
    .language_version:
      - 2
      - 0
    .max_flat_workgroup_size: 256
    .name:           _ZL26rocblas_haxpy_mod_8_kernelILi256EPKDF16_PKS1_PKPDF16_EviT0_lT1_llT2_lli
    .private_segment_fixed_size: 0
    .sgpr_count:     26
    .sgpr_spill_count: 0
    .symbol:         _ZL26rocblas_haxpy_mod_8_kernelILi256EPKDF16_PKS1_PKPDF16_EviT0_lT1_llT2_lli.kd
    .uniform_work_group_size: 1
    .uses_dynamic_stack: false
    .vgpr_count:     10
    .vgpr_spill_count: 0
    .wavefront_size: 32
  - .args:
      - .offset:         0
        .size:           4
        .value_kind:     by_value
      - .offset:         4
        .size:           2
        .value_kind:     by_value
      - .offset:         8
        .size:           8
        .value_kind:     by_value
      - .address_space:  global
        .offset:         16
        .size:           8
        .value_kind:     global_buffer
      - .offset:         24
        .size:           8
        .value_kind:     by_value
      - .offset:         32
        .size:           8
        .value_kind:     by_value
      - .address_space:  global
        .offset:         40
        .size:           8
        .value_kind:     global_buffer
      - .offset:         48
        .size:           8
        .value_kind:     by_value
      - .offset:         56
        .size:           8
        .value_kind:     by_value
      - .offset:         64
        .size:           4
        .value_kind:     by_value
    .group_segment_fixed_size: 0
    .kernarg_segment_align: 8
    .kernarg_segment_size: 68
    .language:       OpenCL C
    .language_version:
      - 2
      - 0
    .max_flat_workgroup_size: 256
    .name:           _ZL26rocblas_haxpy_mlt_8_kernelILi256EDF16_PKPKDF16_PKPDF16_EviT0_lT1_llT2_lli
    .private_segment_fixed_size: 0
    .sgpr_count:     20
    .sgpr_spill_count: 0
    .symbol:         _ZL26rocblas_haxpy_mlt_8_kernelILi256EDF16_PKPKDF16_PKPDF16_EviT0_lT1_llT2_lli.kd
    .uniform_work_group_size: 1
    .uses_dynamic_stack: false
    .vgpr_count:     14
    .vgpr_spill_count: 0
    .wavefront_size: 32
  - .args:
      - .offset:         0
        .size:           4
        .value_kind:     by_value
      - .offset:         4
        .size:           2
        .value_kind:     by_value
      - .offset:         8
        .size:           8
        .value_kind:     by_value
      - .address_space:  global
        .offset:         16
        .size:           8
        .value_kind:     global_buffer
      - .offset:         24
        .size:           8
        .value_kind:     by_value
      - .offset:         32
        .size:           8
        .value_kind:     by_value
      - .address_space:  global
        .offset:         40
        .size:           8
        .value_kind:     global_buffer
      - .offset:         48
        .size:           8
        .value_kind:     by_value
      - .offset:         56
        .size:           8
        .value_kind:     by_value
      - .offset:         64
        .size:           4
        .value_kind:     by_value
    .group_segment_fixed_size: 0
    .kernarg_segment_align: 8
    .kernarg_segment_size: 68
    .language:       OpenCL C
    .language_version:
      - 2
      - 0
    .max_flat_workgroup_size: 256
    .name:           _ZL26rocblas_haxpy_mod_8_kernelILi256EDF16_PKPKDF16_PKPDF16_EviT0_lT1_llT2_lli
    .private_segment_fixed_size: 0
    .sgpr_count:     20
    .sgpr_spill_count: 0
    .symbol:         _ZL26rocblas_haxpy_mod_8_kernelILi256EDF16_PKPKDF16_PKPDF16_EviT0_lT1_llT2_lli.kd
    .uniform_work_group_size: 1
    .uses_dynamic_stack: false
    .vgpr_count:     8
    .vgpr_spill_count: 0
    .wavefront_size: 32
  - .args:
      - .offset:         0
        .size:           4
        .value_kind:     by_value
      - .address_space:  global
        .offset:         8
        .size:           8
        .value_kind:     global_buffer
      - .offset:         16
        .size:           8
        .value_kind:     by_value
      - .actual_access:  read_only
        .address_space:  global
        .offset:         24
        .size:           8
        .value_kind:     global_buffer
      - .offset:         32
        .size:           8
        .value_kind:     by_value
      - .offset:         40
        .size:           8
        .value_kind:     by_value
      - .actual_access:  read_only
        .address_space:  global
        .offset:         48
        .size:           8
        .value_kind:     global_buffer
      - .offset:         56
        .size:           8
        .value_kind:     by_value
      - .offset:         64
        .size:           8
        .value_kind:     by_value
      - .offset:         72
        .size:           4
        .value_kind:     by_value
    .group_segment_fixed_size: 0
    .kernarg_segment_align: 8
    .kernarg_segment_size: 76
    .language:       OpenCL C
    .language_version:
      - 2
      - 0
    .max_flat_workgroup_size: 256
    .name:           _ZL22rocblas_saxpy_2_kernelILi256EDF16_PKDF16_PKS1_PKPDF16_EviT1_lT2_llT3_lli
    .private_segment_fixed_size: 0
    .sgpr_count:     28
    .sgpr_spill_count: 0
    .symbol:         _ZL22rocblas_saxpy_2_kernelILi256EDF16_PKDF16_PKS1_PKPDF16_EviT1_lT2_llT3_lli.kd
    .uniform_work_group_size: 1
    .uses_dynamic_stack: false
    .vgpr_count:     11
    .vgpr_spill_count: 0
    .wavefront_size: 32
  - .args:
      - .offset:         0
        .size:           4
        .value_kind:     by_value
      - .offset:         4
        .size:           2
        .value_kind:     by_value
      - .offset:         8
        .size:           8
        .value_kind:     by_value
      - .actual_access:  read_only
        .address_space:  global
        .offset:         16
        .size:           8
        .value_kind:     global_buffer
      - .offset:         24
        .size:           8
        .value_kind:     by_value
      - .offset:         32
        .size:           8
        .value_kind:     by_value
      - .actual_access:  read_only
        .address_space:  global
        .offset:         40
        .size:           8
        .value_kind:     global_buffer
      - .offset:         48
        .size:           8
        .value_kind:     by_value
      - .offset:         56
        .size:           8
        .value_kind:     by_value
      - .offset:         64
        .size:           4
        .value_kind:     by_value
    .group_segment_fixed_size: 0
    .kernarg_segment_align: 8
    .kernarg_segment_size: 68
    .language:       OpenCL C
    .language_version:
      - 2
      - 0
    .max_flat_workgroup_size: 256
    .name:           _ZL22rocblas_saxpy_2_kernelILi256EDF16_DF16_PKPKDF16_PKPDF16_EviT1_lT2_llT3_lli
    .private_segment_fixed_size: 0
    .sgpr_count:     20
    .sgpr_spill_count: 0
    .symbol:         _ZL22rocblas_saxpy_2_kernelILi256EDF16_DF16_PKPKDF16_PKPDF16_EviT1_lT2_llT3_lli.kd
    .uniform_work_group_size: 1
    .uses_dynamic_stack: false
    .vgpr_count:     9
    .vgpr_spill_count: 0
    .wavefront_size: 32
  - .args:
      - .offset:         0
        .size:           4
        .value_kind:     by_value
      - .address_space:  global
        .offset:         8
        .size:           8
        .value_kind:     global_buffer
      - .offset:         16
        .size:           8
        .value_kind:     by_value
      - .address_space:  global
        .offset:         24
        .size:           8
        .value_kind:     global_buffer
      - .offset:         32
        .size:           8
        .value_kind:     by_value
      - .offset:         40
        .size:           4
        .value_kind:     by_value
      - .offset:         48
        .size:           8
        .value_kind:     by_value
      - .address_space:  global
        .offset:         56
        .size:           8
        .value_kind:     global_buffer
      - .offset:         64
        .size:           8
        .value_kind:     by_value
      - .offset:         72
        .size:           4
        .value_kind:     by_value
      - .offset:         80
        .size:           8
        .value_kind:     by_value
      - .offset:         88
        .size:           4
        .value_kind:     by_value
      - .offset:         96
        .size:           4
        .value_kind:     hidden_block_count_x
      - .offset:         100
        .size:           4
        .value_kind:     hidden_block_count_y
      - .offset:         104
        .size:           4
        .value_kind:     hidden_block_count_z
      - .offset:         108
        .size:           2
        .value_kind:     hidden_group_size_x
      - .offset:         110
        .size:           2
        .value_kind:     hidden_group_size_y
      - .offset:         112
        .size:           2
        .value_kind:     hidden_group_size_z
      - .offset:         114
        .size:           2
        .value_kind:     hidden_remainder_x
      - .offset:         116
        .size:           2
        .value_kind:     hidden_remainder_y
      - .offset:         118
        .size:           2
        .value_kind:     hidden_remainder_z
      - .offset:         136
        .size:           8
        .value_kind:     hidden_global_offset_x
      - .offset:         144
        .size:           8
        .value_kind:     hidden_global_offset_y
      - .offset:         152
        .size:           8
        .value_kind:     hidden_global_offset_z
      - .offset:         160
        .size:           2
        .value_kind:     hidden_grid_dims
    .group_segment_fixed_size: 0
    .kernarg_segment_align: 8
    .kernarg_segment_size: 352
    .language:       OpenCL C
    .language_version:
      - 2
      - 0
    .max_flat_workgroup_size: 1024
    .name:           _ZL27rocblas_axpy_kernel_batchedIiLi128ELi8EDF16_PKDF16_PKS1_PKPDF16_EviT3_lT4_lT_lT5_lS9_li
    .private_segment_fixed_size: 0
    .sgpr_count:     18
    .sgpr_spill_count: 0
    .symbol:         _ZL27rocblas_axpy_kernel_batchedIiLi128ELi8EDF16_PKDF16_PKS1_PKPDF16_EviT3_lT4_lT_lT5_lS9_li.kd
    .uniform_work_group_size: 1
    .uses_dynamic_stack: false
    .vgpr_count:     16
    .vgpr_spill_count: 0
    .wavefront_size: 32
  - .args:
      - .offset:         0
        .size:           4
        .value_kind:     by_value
      - .offset:         4
        .size:           2
        .value_kind:     by_value
      - .offset:         8
        .size:           8
        .value_kind:     by_value
      - .address_space:  global
        .offset:         16
        .size:           8
        .value_kind:     global_buffer
      - .offset:         24
        .size:           8
        .value_kind:     by_value
      - .offset:         32
        .size:           4
        .value_kind:     by_value
      - .offset:         40
        .size:           8
        .value_kind:     by_value
      - .address_space:  global
        .offset:         48
        .size:           8
        .value_kind:     global_buffer
      - .offset:         56
        .size:           8
        .value_kind:     by_value
      - .offset:         64
        .size:           4
        .value_kind:     by_value
      - .offset:         72
        .size:           8
        .value_kind:     by_value
      - .offset:         80
        .size:           4
        .value_kind:     by_value
      - .offset:         88
        .size:           4
        .value_kind:     hidden_block_count_x
      - .offset:         92
        .size:           4
        .value_kind:     hidden_block_count_y
      - .offset:         96
        .size:           4
        .value_kind:     hidden_block_count_z
      - .offset:         100
        .size:           2
        .value_kind:     hidden_group_size_x
      - .offset:         102
        .size:           2
        .value_kind:     hidden_group_size_y
      - .offset:         104
        .size:           2
        .value_kind:     hidden_group_size_z
      - .offset:         106
        .size:           2
        .value_kind:     hidden_remainder_x
      - .offset:         108
        .size:           2
        .value_kind:     hidden_remainder_y
      - .offset:         110
        .size:           2
        .value_kind:     hidden_remainder_z
      - .offset:         128
        .size:           8
        .value_kind:     hidden_global_offset_x
      - .offset:         136
        .size:           8
        .value_kind:     hidden_global_offset_y
      - .offset:         144
        .size:           8
        .value_kind:     hidden_global_offset_z
      - .offset:         152
        .size:           2
        .value_kind:     hidden_grid_dims
    .group_segment_fixed_size: 0
    .kernarg_segment_align: 8
    .kernarg_segment_size: 344
    .language:       OpenCL C
    .language_version:
      - 2
      - 0
    .max_flat_workgroup_size: 1024
    .name:           _ZL27rocblas_axpy_kernel_batchedIiLi128ELi8EDF16_DF16_PKPKDF16_PKPDF16_EviT3_lT4_lT_lT5_lS9_li
    .private_segment_fixed_size: 0
    .sgpr_count:     17
    .sgpr_spill_count: 0
    .symbol:         _ZL27rocblas_axpy_kernel_batchedIiLi128ELi8EDF16_DF16_PKPKDF16_PKPDF16_EviT3_lT4_lT_lT5_lS9_li.kd
    .uniform_work_group_size: 1
    .uses_dynamic_stack: false
    .vgpr_count:     11
    .vgpr_spill_count: 0
    .wavefront_size: 32
  - .args:
      - .offset:         0
        .size:           4
        .value_kind:     by_value
      - .address_space:  global
        .offset:         8
        .size:           8
        .value_kind:     global_buffer
      - .offset:         16
        .size:           8
        .value_kind:     by_value
      - .actual_access:  read_only
        .address_space:  global
        .offset:         24
        .size:           8
        .value_kind:     global_buffer
      - .offset:         32
        .size:           8
        .value_kind:     by_value
      - .offset:         40
        .size:           4
        .value_kind:     by_value
      - .offset:         48
        .size:           8
        .value_kind:     by_value
      - .actual_access:  read_only
        .address_space:  global
        .offset:         56
        .size:           8
        .value_kind:     global_buffer
      - .offset:         64
        .size:           8
        .value_kind:     by_value
      - .offset:         72
        .size:           4
        .value_kind:     by_value
      - .offset:         80
        .size:           8
        .value_kind:     by_value
      - .offset:         88
        .size:           4
        .value_kind:     by_value
    .group_segment_fixed_size: 0
    .kernarg_segment_align: 8
    .kernarg_segment_size: 92
    .language:       OpenCL C
    .language_version:
      - 2
      - 0
    .max_flat_workgroup_size: 256
    .name:           _ZL19rocblas_axpy_kernelIiLi256EDF16_PKDF16_PKS1_PKPDF16_EviT2_lT3_lT_lT4_lS9_li
    .private_segment_fixed_size: 0
    .sgpr_count:     28
    .sgpr_spill_count: 0
    .symbol:         _ZL19rocblas_axpy_kernelIiLi256EDF16_PKDF16_PKS1_PKPDF16_EviT2_lT3_lT_lT4_lS9_li.kd
    .uniform_work_group_size: 1
    .uses_dynamic_stack: false
    .vgpr_count:     12
    .vgpr_spill_count: 0
    .wavefront_size: 32
  - .args:
      - .offset:         0
        .size:           4
        .value_kind:     by_value
      - .offset:         4
        .size:           2
        .value_kind:     by_value
      - .offset:         8
        .size:           8
        .value_kind:     by_value
      - .actual_access:  read_only
        .address_space:  global
        .offset:         16
        .size:           8
        .value_kind:     global_buffer
      - .offset:         24
        .size:           8
        .value_kind:     by_value
      - .offset:         32
        .size:           4
        .value_kind:     by_value
      - .offset:         40
        .size:           8
        .value_kind:     by_value
      - .actual_access:  read_only
        .address_space:  global
        .offset:         48
        .size:           8
        .value_kind:     global_buffer
      - .offset:         56
        .size:           8
        .value_kind:     by_value
      - .offset:         64
        .size:           4
        .value_kind:     by_value
      - .offset:         72
        .size:           8
        .value_kind:     by_value
      - .offset:         80
        .size:           4
        .value_kind:     by_value
    .group_segment_fixed_size: 0
    .kernarg_segment_align: 8
    .kernarg_segment_size: 84
    .language:       OpenCL C
    .language_version:
      - 2
      - 0
    .max_flat_workgroup_size: 256
    .name:           _ZL19rocblas_axpy_kernelIiLi256EDF16_DF16_PKPKDF16_PKPDF16_EviT2_lT3_lT_lT4_lS9_li
    .private_segment_fixed_size: 0
    .sgpr_count:     20
    .sgpr_spill_count: 0
    .symbol:         _ZL19rocblas_axpy_kernelIiLi256EDF16_DF16_PKPKDF16_PKPDF16_EviT2_lT3_lT_lT4_lS9_li.kd
    .uniform_work_group_size: 1
    .uses_dynamic_stack: false
    .vgpr_count:     10
    .vgpr_spill_count: 0
    .wavefront_size: 32
  - .args:
      - .offset:         0
        .size:           4
        .value_kind:     by_value
      - .address_space:  global
        .offset:         8
        .size:           8
        .value_kind:     global_buffer
      - .offset:         16
        .size:           8
        .value_kind:     by_value
      - .actual_access:  read_only
        .address_space:  global
        .offset:         24
        .size:           8
        .value_kind:     global_buffer
      - .offset:         32
        .size:           8
        .value_kind:     by_value
      - .offset:         40
        .size:           8
        .value_kind:     by_value
      - .offset:         48
        .size:           8
        .value_kind:     by_value
      - .actual_access:  read_only
        .address_space:  global
        .offset:         56
        .size:           8
        .value_kind:     global_buffer
      - .offset:         64
        .size:           8
        .value_kind:     by_value
      - .offset:         72
        .size:           8
        .value_kind:     by_value
      - .offset:         80
        .size:           8
        .value_kind:     by_value
      - .offset:         88
        .size:           4
        .value_kind:     by_value
    .group_segment_fixed_size: 0
    .kernarg_segment_align: 8
    .kernarg_segment_size: 92
    .language:       OpenCL C
    .language_version:
      - 2
      - 0
    .max_flat_workgroup_size: 256
    .name:           _ZL19rocblas_axpy_kernelIlLi256EDF16_PKDF16_PKS1_PKPDF16_EviT2_lT3_lT_lT4_lS9_li
    .private_segment_fixed_size: 0
    .sgpr_count:     26
    .sgpr_spill_count: 0
    .symbol:         _ZL19rocblas_axpy_kernelIlLi256EDF16_PKDF16_PKS1_PKPDF16_EviT2_lT3_lT_lT4_lS9_li.kd
    .uniform_work_group_size: 1
    .uses_dynamic_stack: false
    .vgpr_count:     12
    .vgpr_spill_count: 0
    .wavefront_size: 32
  - .args:
      - .offset:         0
        .size:           4
        .value_kind:     by_value
      - .offset:         4
        .size:           2
        .value_kind:     by_value
      - .offset:         8
        .size:           8
        .value_kind:     by_value
      - .actual_access:  read_only
        .address_space:  global
        .offset:         16
        .size:           8
        .value_kind:     global_buffer
      - .offset:         24
        .size:           8
        .value_kind:     by_value
      - .offset:         32
        .size:           8
        .value_kind:     by_value
      - .offset:         40
        .size:           8
        .value_kind:     by_value
      - .actual_access:  read_only
        .address_space:  global
        .offset:         48
        .size:           8
        .value_kind:     global_buffer
      - .offset:         56
        .size:           8
        .value_kind:     by_value
      - .offset:         64
        .size:           8
        .value_kind:     by_value
      - .offset:         72
        .size:           8
        .value_kind:     by_value
      - .offset:         80
        .size:           4
        .value_kind:     by_value
    .group_segment_fixed_size: 0
    .kernarg_segment_align: 8
    .kernarg_segment_size: 84
    .language:       OpenCL C
    .language_version:
      - 2
      - 0
    .max_flat_workgroup_size: 256
    .name:           _ZL19rocblas_axpy_kernelIlLi256EDF16_DF16_PKPKDF16_PKPDF16_EviT2_lT3_lT_lT4_lS9_li
    .private_segment_fixed_size: 0
    .sgpr_count:     22
    .sgpr_spill_count: 0
    .symbol:         _ZL19rocblas_axpy_kernelIlLi256EDF16_DF16_PKPKDF16_PKPDF16_EviT2_lT3_lT_lT4_lS9_li.kd
    .uniform_work_group_size: 1
    .uses_dynamic_stack: false
    .vgpr_count:     10
    .vgpr_spill_count: 0
    .wavefront_size: 32
  - .args:
      - .offset:         0
        .size:           4
        .value_kind:     by_value
      - .address_space:  global
        .offset:         8
        .size:           8
        .value_kind:     global_buffer
      - .offset:         16
        .size:           8
        .value_kind:     by_value
      - .address_space:  global
        .offset:         24
        .size:           8
        .value_kind:     global_buffer
      - .offset:         32
        .size:           8
        .value_kind:     by_value
      - .offset:         40
        .size:           8
        .value_kind:     by_value
      - .address_space:  global
        .offset:         48
        .size:           8
        .value_kind:     global_buffer
      - .offset:         56
        .size:           8
        .value_kind:     by_value
      - .offset:         64
        .size:           8
        .value_kind:     by_value
      - .offset:         72
        .size:           4
        .value_kind:     by_value
    .group_segment_fixed_size: 0
    .kernarg_segment_align: 8
    .kernarg_segment_size: 76
    .language:       OpenCL C
    .language_version:
      - 2
      - 0
    .max_flat_workgroup_size: 256
    .name:           _ZL26rocblas_haxpy_mlt_8_kernelILi256EPKDF16_PKPKfPKPfEviT0_lT1_llT2_lli
    .private_segment_fixed_size: 0
    .sgpr_count:     24
    .sgpr_spill_count: 0
    .symbol:         _ZL26rocblas_haxpy_mlt_8_kernelILi256EPKDF16_PKPKfPKPfEviT0_lT1_llT2_lli.kd
    .uniform_work_group_size: 1
    .uses_dynamic_stack: false
    .vgpr_count:     16
    .vgpr_spill_count: 0
    .wavefront_size: 32
  - .args:
      - .offset:         0
        .size:           4
        .value_kind:     by_value
      - .address_space:  global
        .offset:         8
        .size:           8
        .value_kind:     global_buffer
      - .offset:         16
        .size:           8
        .value_kind:     by_value
      - .address_space:  global
        .offset:         24
        .size:           8
        .value_kind:     global_buffer
      - .offset:         32
        .size:           8
        .value_kind:     by_value
      - .offset:         40
        .size:           8
        .value_kind:     by_value
      - .address_space:  global
        .offset:         48
        .size:           8
        .value_kind:     global_buffer
      - .offset:         56
        .size:           8
        .value_kind:     by_value
      - .offset:         64
        .size:           8
        .value_kind:     by_value
      - .offset:         72
        .size:           4
        .value_kind:     by_value
    .group_segment_fixed_size: 0
    .kernarg_segment_align: 8
    .kernarg_segment_size: 76
    .language:       OpenCL C
    .language_version:
      - 2
      - 0
    .max_flat_workgroup_size: 256
    .name:           _ZL26rocblas_haxpy_mod_8_kernelILi256EPKfPKS1_PKPfEviT0_lT1_llT2_lli
    .private_segment_fixed_size: 0
    .sgpr_count:     26
    .sgpr_spill_count: 0
    .symbol:         _ZL26rocblas_haxpy_mod_8_kernelILi256EPKfPKS1_PKPfEviT0_lT1_llT2_lli.kd
    .uniform_work_group_size: 1
    .uses_dynamic_stack: false
    .vgpr_count:     10
    .vgpr_spill_count: 0
    .wavefront_size: 32
  - .args:
      - .offset:         0
        .size:           4
        .value_kind:     by_value
      - .offset:         4
        .size:           2
        .value_kind:     by_value
      - .offset:         8
        .size:           8
        .value_kind:     by_value
      - .address_space:  global
        .offset:         16
        .size:           8
        .value_kind:     global_buffer
      - .offset:         24
        .size:           8
        .value_kind:     by_value
      - .offset:         32
        .size:           8
        .value_kind:     by_value
      - .address_space:  global
        .offset:         40
        .size:           8
        .value_kind:     global_buffer
      - .offset:         48
        .size:           8
        .value_kind:     by_value
      - .offset:         56
        .size:           8
        .value_kind:     by_value
      - .offset:         64
        .size:           4
        .value_kind:     by_value
    .group_segment_fixed_size: 0
    .kernarg_segment_align: 8
    .kernarg_segment_size: 68
    .language:       OpenCL C
    .language_version:
      - 2
      - 0
    .max_flat_workgroup_size: 256
    .name:           _ZL26rocblas_haxpy_mlt_8_kernelILi256EDF16_PKPKfPKPfEviT0_lT1_llT2_lli
    .private_segment_fixed_size: 0
    .sgpr_count:     20
    .sgpr_spill_count: 0
    .symbol:         _ZL26rocblas_haxpy_mlt_8_kernelILi256EDF16_PKPKfPKPfEviT0_lT1_llT2_lli.kd
    .uniform_work_group_size: 1
    .uses_dynamic_stack: false
    .vgpr_count:     14
    .vgpr_spill_count: 0
    .wavefront_size: 32
  - .args:
      - .offset:         0
        .size:           4
        .value_kind:     by_value
      - .offset:         4
        .size:           4
        .value_kind:     by_value
      - .offset:         8
        .size:           8
        .value_kind:     by_value
      - .address_space:  global
        .offset:         16
        .size:           8
        .value_kind:     global_buffer
      - .offset:         24
        .size:           8
        .value_kind:     by_value
      - .offset:         32
        .size:           8
        .value_kind:     by_value
      - .address_space:  global
        .offset:         40
        .size:           8
        .value_kind:     global_buffer
      - .offset:         48
        .size:           8
        .value_kind:     by_value
      - .offset:         56
        .size:           8
        .value_kind:     by_value
      - .offset:         64
        .size:           4
        .value_kind:     by_value
    .group_segment_fixed_size: 0
    .kernarg_segment_align: 8
    .kernarg_segment_size: 68
    .language:       OpenCL C
    .language_version:
      - 2
      - 0
    .max_flat_workgroup_size: 256
    .name:           _ZL26rocblas_haxpy_mod_8_kernelILi256EfPKPKfPKPfEviT0_lT1_llT2_lli
    .private_segment_fixed_size: 0
    .sgpr_count:     20
    .sgpr_spill_count: 0
    .symbol:         _ZL26rocblas_haxpy_mod_8_kernelILi256EfPKPKfPKPfEviT0_lT1_llT2_lli.kd
    .uniform_work_group_size: 1
    .uses_dynamic_stack: false
    .vgpr_count:     8
    .vgpr_spill_count: 0
    .wavefront_size: 32
  - .args:
      - .offset:         0
        .size:           4
        .value_kind:     by_value
      - .address_space:  global
        .offset:         8
        .size:           8
        .value_kind:     global_buffer
      - .offset:         16
        .size:           8
        .value_kind:     by_value
      - .actual_access:  read_only
        .address_space:  global
        .offset:         24
        .size:           8
        .value_kind:     global_buffer
      - .offset:         32
        .size:           8
        .value_kind:     by_value
      - .offset:         40
        .size:           8
        .value_kind:     by_value
      - .actual_access:  read_only
        .address_space:  global
        .offset:         48
        .size:           8
        .value_kind:     global_buffer
      - .offset:         56
        .size:           8
        .value_kind:     by_value
      - .offset:         64
        .size:           8
        .value_kind:     by_value
      - .offset:         72
        .size:           4
        .value_kind:     by_value
    .group_segment_fixed_size: 0
    .kernarg_segment_align: 8
    .kernarg_segment_size: 76
    .language:       OpenCL C
    .language_version:
      - 2
      - 0
    .max_flat_workgroup_size: 256
    .name:           _ZL22rocblas_saxpy_2_kernelILi256EfPKfPKS1_PKPfEviT1_lT2_llT3_lli
    .private_segment_fixed_size: 0
    .sgpr_count:     28
    .sgpr_spill_count: 0
    .symbol:         _ZL22rocblas_saxpy_2_kernelILi256EfPKfPKS1_PKPfEviT1_lT2_llT3_lli.kd
    .uniform_work_group_size: 1
    .uses_dynamic_stack: false
    .vgpr_count:     11
    .vgpr_spill_count: 0
    .wavefront_size: 32
  - .args:
      - .offset:         0
        .size:           4
        .value_kind:     by_value
      - .offset:         4
        .size:           4
        .value_kind:     by_value
      - .offset:         8
        .size:           8
        .value_kind:     by_value
      - .actual_access:  read_only
        .address_space:  global
        .offset:         16
        .size:           8
        .value_kind:     global_buffer
      - .offset:         24
        .size:           8
        .value_kind:     by_value
      - .offset:         32
        .size:           8
        .value_kind:     by_value
      - .actual_access:  read_only
        .address_space:  global
        .offset:         40
        .size:           8
        .value_kind:     global_buffer
      - .offset:         48
        .size:           8
        .value_kind:     by_value
      - .offset:         56
        .size:           8
        .value_kind:     by_value
      - .offset:         64
        .size:           4
        .value_kind:     by_value
    .group_segment_fixed_size: 0
    .kernarg_segment_align: 8
    .kernarg_segment_size: 68
    .language:       OpenCL C
    .language_version:
      - 2
      - 0
    .max_flat_workgroup_size: 256
    .name:           _ZL22rocblas_saxpy_2_kernelILi256EffPKPKfPKPfEviT1_lT2_llT3_lli
    .private_segment_fixed_size: 0
    .sgpr_count:     20
    .sgpr_spill_count: 0
    .symbol:         _ZL22rocblas_saxpy_2_kernelILi256EffPKPKfPKPfEviT1_lT2_llT3_lli.kd
    .uniform_work_group_size: 1
    .uses_dynamic_stack: false
    .vgpr_count:     9
    .vgpr_spill_count: 0
    .wavefront_size: 32
  - .args:
      - .offset:         0
        .size:           4
        .value_kind:     by_value
      - .address_space:  global
        .offset:         8
        .size:           8
        .value_kind:     global_buffer
      - .offset:         16
        .size:           8
        .value_kind:     by_value
      - .address_space:  global
        .offset:         24
        .size:           8
        .value_kind:     global_buffer
      - .offset:         32
        .size:           8
        .value_kind:     by_value
      - .offset:         40
        .size:           4
        .value_kind:     by_value
      - .offset:         48
        .size:           8
        .value_kind:     by_value
      - .address_space:  global
        .offset:         56
        .size:           8
        .value_kind:     global_buffer
      - .offset:         64
        .size:           8
        .value_kind:     by_value
      - .offset:         72
        .size:           4
        .value_kind:     by_value
      - .offset:         80
        .size:           8
        .value_kind:     by_value
      - .offset:         88
        .size:           4
        .value_kind:     by_value
      - .offset:         96
        .size:           4
        .value_kind:     hidden_block_count_x
      - .offset:         100
        .size:           4
        .value_kind:     hidden_block_count_y
      - .offset:         104
        .size:           4
        .value_kind:     hidden_block_count_z
      - .offset:         108
        .size:           2
        .value_kind:     hidden_group_size_x
      - .offset:         110
        .size:           2
        .value_kind:     hidden_group_size_y
      - .offset:         112
        .size:           2
        .value_kind:     hidden_group_size_z
      - .offset:         114
        .size:           2
        .value_kind:     hidden_remainder_x
      - .offset:         116
        .size:           2
        .value_kind:     hidden_remainder_y
      - .offset:         118
        .size:           2
        .value_kind:     hidden_remainder_z
      - .offset:         136
        .size:           8
        .value_kind:     hidden_global_offset_x
      - .offset:         144
        .size:           8
        .value_kind:     hidden_global_offset_y
      - .offset:         152
        .size:           8
        .value_kind:     hidden_global_offset_z
      - .offset:         160
        .size:           2
        .value_kind:     hidden_grid_dims
    .group_segment_fixed_size: 0
    .kernarg_segment_align: 8
    .kernarg_segment_size: 352
    .language:       OpenCL C
    .language_version:
      - 2
      - 0
    .max_flat_workgroup_size: 1024
    .name:           _ZL27rocblas_axpy_kernel_batchedIiLi128ELi8EfPKfPKS1_PKPfEviT3_lT4_lT_lT5_lS9_li
    .private_segment_fixed_size: 0
    .sgpr_count:     18
    .sgpr_spill_count: 0
    .symbol:         _ZL27rocblas_axpy_kernel_batchedIiLi128ELi8EfPKfPKS1_PKPfEviT3_lT4_lT_lT5_lS9_li.kd
    .uniform_work_group_size: 1
    .uses_dynamic_stack: false
    .vgpr_count:     16
    .vgpr_spill_count: 0
    .wavefront_size: 32
  - .args:
      - .offset:         0
        .size:           4
        .value_kind:     by_value
      - .offset:         4
        .size:           4
        .value_kind:     by_value
      - .offset:         8
        .size:           8
        .value_kind:     by_value
      - .address_space:  global
        .offset:         16
        .size:           8
        .value_kind:     global_buffer
      - .offset:         24
        .size:           8
        .value_kind:     by_value
      - .offset:         32
        .size:           4
        .value_kind:     by_value
      - .offset:         40
        .size:           8
        .value_kind:     by_value
      - .address_space:  global
        .offset:         48
        .size:           8
        .value_kind:     global_buffer
      - .offset:         56
        .size:           8
        .value_kind:     by_value
      - .offset:         64
        .size:           4
        .value_kind:     by_value
      - .offset:         72
        .size:           8
        .value_kind:     by_value
      - .offset:         80
        .size:           4
        .value_kind:     by_value
      - .offset:         88
        .size:           4
        .value_kind:     hidden_block_count_x
      - .offset:         92
        .size:           4
        .value_kind:     hidden_block_count_y
      - .offset:         96
        .size:           4
        .value_kind:     hidden_block_count_z
      - .offset:         100
        .size:           2
        .value_kind:     hidden_group_size_x
      - .offset:         102
        .size:           2
        .value_kind:     hidden_group_size_y
      - .offset:         104
        .size:           2
        .value_kind:     hidden_group_size_z
      - .offset:         106
        .size:           2
        .value_kind:     hidden_remainder_x
      - .offset:         108
        .size:           2
        .value_kind:     hidden_remainder_y
      - .offset:         110
        .size:           2
        .value_kind:     hidden_remainder_z
      - .offset:         128
        .size:           8
        .value_kind:     hidden_global_offset_x
      - .offset:         136
        .size:           8
        .value_kind:     hidden_global_offset_y
      - .offset:         144
        .size:           8
        .value_kind:     hidden_global_offset_z
      - .offset:         152
        .size:           2
        .value_kind:     hidden_grid_dims
    .group_segment_fixed_size: 0
    .kernarg_segment_align: 8
    .kernarg_segment_size: 344
    .language:       OpenCL C
    .language_version:
      - 2
      - 0
    .max_flat_workgroup_size: 1024
    .name:           _ZL27rocblas_axpy_kernel_batchedIiLi128ELi8EffPKPKfPKPfEviT3_lT4_lT_lT5_lS9_li
    .private_segment_fixed_size: 0
    .sgpr_count:     17
    .sgpr_spill_count: 0
    .symbol:         _ZL27rocblas_axpy_kernel_batchedIiLi128ELi8EffPKPKfPKPfEviT3_lT4_lT_lT5_lS9_li.kd
    .uniform_work_group_size: 1
    .uses_dynamic_stack: false
    .vgpr_count:     11
    .vgpr_spill_count: 0
    .wavefront_size: 32
  - .args:
      - .offset:         0
        .size:           4
        .value_kind:     by_value
      - .address_space:  global
        .offset:         8
        .size:           8
        .value_kind:     global_buffer
      - .offset:         16
        .size:           8
        .value_kind:     by_value
      - .actual_access:  read_only
        .address_space:  global
        .offset:         24
        .size:           8
        .value_kind:     global_buffer
      - .offset:         32
        .size:           8
        .value_kind:     by_value
      - .offset:         40
        .size:           4
        .value_kind:     by_value
      - .offset:         48
        .size:           8
        .value_kind:     by_value
      - .actual_access:  read_only
        .address_space:  global
        .offset:         56
        .size:           8
        .value_kind:     global_buffer
      - .offset:         64
        .size:           8
        .value_kind:     by_value
      - .offset:         72
        .size:           4
        .value_kind:     by_value
      - .offset:         80
        .size:           8
        .value_kind:     by_value
      - .offset:         88
        .size:           4
        .value_kind:     by_value
    .group_segment_fixed_size: 0
    .kernarg_segment_align: 8
    .kernarg_segment_size: 92
    .language:       OpenCL C
    .language_version:
      - 2
      - 0
    .max_flat_workgroup_size: 256
    .name:           _ZL19rocblas_axpy_kernelIiLi256EfPKfPKS1_PKPfEviT2_lT3_lT_lT4_lS9_li
    .private_segment_fixed_size: 0
    .sgpr_count:     28
    .sgpr_spill_count: 0
    .symbol:         _ZL19rocblas_axpy_kernelIiLi256EfPKfPKS1_PKPfEviT2_lT3_lT_lT4_lS9_li.kd
    .uniform_work_group_size: 1
    .uses_dynamic_stack: false
    .vgpr_count:     12
    .vgpr_spill_count: 0
    .wavefront_size: 32
  - .args:
      - .offset:         0
        .size:           4
        .value_kind:     by_value
      - .offset:         4
        .size:           4
        .value_kind:     by_value
      - .offset:         8
        .size:           8
        .value_kind:     by_value
      - .actual_access:  read_only
        .address_space:  global
        .offset:         16
        .size:           8
        .value_kind:     global_buffer
      - .offset:         24
        .size:           8
        .value_kind:     by_value
      - .offset:         32
        .size:           4
        .value_kind:     by_value
      - .offset:         40
        .size:           8
        .value_kind:     by_value
      - .actual_access:  read_only
        .address_space:  global
        .offset:         48
        .size:           8
        .value_kind:     global_buffer
      - .offset:         56
        .size:           8
        .value_kind:     by_value
      - .offset:         64
        .size:           4
        .value_kind:     by_value
      - .offset:         72
        .size:           8
        .value_kind:     by_value
      - .offset:         80
        .size:           4
        .value_kind:     by_value
    .group_segment_fixed_size: 0
    .kernarg_segment_align: 8
    .kernarg_segment_size: 84
    .language:       OpenCL C
    .language_version:
      - 2
      - 0
    .max_flat_workgroup_size: 256
    .name:           _ZL19rocblas_axpy_kernelIiLi256EffPKPKfPKPfEviT2_lT3_lT_lT4_lS9_li
    .private_segment_fixed_size: 0
    .sgpr_count:     20
    .sgpr_spill_count: 0
    .symbol:         _ZL19rocblas_axpy_kernelIiLi256EffPKPKfPKPfEviT2_lT3_lT_lT4_lS9_li.kd
    .uniform_work_group_size: 1
    .uses_dynamic_stack: false
    .vgpr_count:     10
    .vgpr_spill_count: 0
    .wavefront_size: 32
  - .args:
      - .offset:         0
        .size:           4
        .value_kind:     by_value
      - .address_space:  global
        .offset:         8
        .size:           8
        .value_kind:     global_buffer
      - .offset:         16
        .size:           8
        .value_kind:     by_value
      - .actual_access:  read_only
        .address_space:  global
        .offset:         24
        .size:           8
        .value_kind:     global_buffer
      - .offset:         32
        .size:           8
        .value_kind:     by_value
      - .offset:         40
        .size:           8
        .value_kind:     by_value
      - .offset:         48
        .size:           8
        .value_kind:     by_value
      - .actual_access:  read_only
        .address_space:  global
        .offset:         56
        .size:           8
        .value_kind:     global_buffer
      - .offset:         64
        .size:           8
        .value_kind:     by_value
      - .offset:         72
        .size:           8
        .value_kind:     by_value
      - .offset:         80
        .size:           8
        .value_kind:     by_value
      - .offset:         88
        .size:           4
        .value_kind:     by_value
    .group_segment_fixed_size: 0
    .kernarg_segment_align: 8
    .kernarg_segment_size: 92
    .language:       OpenCL C
    .language_version:
      - 2
      - 0
    .max_flat_workgroup_size: 256
    .name:           _ZL19rocblas_axpy_kernelIlLi256EfPKfPKS1_PKPfEviT2_lT3_lT_lT4_lS9_li
    .private_segment_fixed_size: 0
    .sgpr_count:     26
    .sgpr_spill_count: 0
    .symbol:         _ZL19rocblas_axpy_kernelIlLi256EfPKfPKS1_PKPfEviT2_lT3_lT_lT4_lS9_li.kd
    .uniform_work_group_size: 1
    .uses_dynamic_stack: false
    .vgpr_count:     12
    .vgpr_spill_count: 0
    .wavefront_size: 32
  - .args:
      - .offset:         0
        .size:           4
        .value_kind:     by_value
      - .offset:         4
        .size:           4
        .value_kind:     by_value
      - .offset:         8
        .size:           8
        .value_kind:     by_value
      - .actual_access:  read_only
        .address_space:  global
        .offset:         16
        .size:           8
        .value_kind:     global_buffer
      - .offset:         24
        .size:           8
        .value_kind:     by_value
      - .offset:         32
        .size:           8
        .value_kind:     by_value
      - .offset:         40
        .size:           8
        .value_kind:     by_value
      - .actual_access:  read_only
        .address_space:  global
        .offset:         48
        .size:           8
        .value_kind:     global_buffer
      - .offset:         56
        .size:           8
        .value_kind:     by_value
      - .offset:         64
        .size:           8
        .value_kind:     by_value
      - .offset:         72
        .size:           8
        .value_kind:     by_value
      - .offset:         80
        .size:           4
        .value_kind:     by_value
    .group_segment_fixed_size: 0
    .kernarg_segment_align: 8
    .kernarg_segment_size: 84
    .language:       OpenCL C
    .language_version:
      - 2
      - 0
    .max_flat_workgroup_size: 256
    .name:           _ZL19rocblas_axpy_kernelIlLi256EffPKPKfPKPfEviT2_lT3_lT_lT4_lS9_li
    .private_segment_fixed_size: 0
    .sgpr_count:     22
    .sgpr_spill_count: 0
    .symbol:         _ZL19rocblas_axpy_kernelIlLi256EffPKPKfPKPfEviT2_lT3_lT_lT4_lS9_li.kd
    .uniform_work_group_size: 1
    .uses_dynamic_stack: false
    .vgpr_count:     10
    .vgpr_spill_count: 0
    .wavefront_size: 32
  - .args:
      - .offset:         0
        .size:           4
        .value_kind:     by_value
      - .address_space:  global
        .offset:         8
        .size:           8
        .value_kind:     global_buffer
      - .offset:         16
        .size:           8
        .value_kind:     by_value
      - .address_space:  global
        .offset:         24
        .size:           8
        .value_kind:     global_buffer
      - .offset:         32
        .size:           8
        .value_kind:     by_value
      - .offset:         40
        .size:           8
        .value_kind:     by_value
      - .address_space:  global
        .offset:         48
        .size:           8
        .value_kind:     global_buffer
      - .offset:         56
        .size:           8
        .value_kind:     by_value
      - .offset:         64
        .size:           8
        .value_kind:     by_value
      - .offset:         72
        .size:           4
        .value_kind:     by_value
    .group_segment_fixed_size: 0
    .kernarg_segment_align: 8
    .kernarg_segment_size: 76
    .language:       OpenCL C
    .language_version:
      - 2
      - 0
    .max_flat_workgroup_size: 256
    .name:           _ZL26rocblas_haxpy_mlt_8_kernelILi256EPKDF16_PKPKdPKPdEviT0_lT1_llT2_lli
    .private_segment_fixed_size: 0
    .sgpr_count:     24
    .sgpr_spill_count: 0
    .symbol:         _ZL26rocblas_haxpy_mlt_8_kernelILi256EPKDF16_PKPKdPKPdEviT0_lT1_llT2_lli.kd
    .uniform_work_group_size: 1
    .uses_dynamic_stack: false
    .vgpr_count:     16
    .vgpr_spill_count: 0
    .wavefront_size: 32
  - .args:
      - .offset:         0
        .size:           4
        .value_kind:     by_value
      - .address_space:  global
        .offset:         8
        .size:           8
        .value_kind:     global_buffer
      - .offset:         16
        .size:           8
        .value_kind:     by_value
      - .address_space:  global
        .offset:         24
        .size:           8
        .value_kind:     global_buffer
      - .offset:         32
        .size:           8
        .value_kind:     by_value
      - .offset:         40
        .size:           8
        .value_kind:     by_value
      - .address_space:  global
        .offset:         48
        .size:           8
        .value_kind:     global_buffer
      - .offset:         56
        .size:           8
        .value_kind:     by_value
      - .offset:         64
        .size:           8
        .value_kind:     by_value
      - .offset:         72
        .size:           4
        .value_kind:     by_value
    .group_segment_fixed_size: 0
    .kernarg_segment_align: 8
    .kernarg_segment_size: 76
    .language:       OpenCL C
    .language_version:
      - 2
      - 0
    .max_flat_workgroup_size: 256
    .name:           _ZL26rocblas_haxpy_mod_8_kernelILi256EPKdPKS1_PKPdEviT0_lT1_llT2_lli
    .private_segment_fixed_size: 0
    .sgpr_count:     28
    .sgpr_spill_count: 0
    .symbol:         _ZL26rocblas_haxpy_mod_8_kernelILi256EPKdPKS1_PKPdEviT0_lT1_llT2_lli.kd
    .uniform_work_group_size: 1
    .uses_dynamic_stack: false
    .vgpr_count:     14
    .vgpr_spill_count: 0
    .wavefront_size: 32
  - .args:
      - .offset:         0
        .size:           4
        .value_kind:     by_value
      - .offset:         4
        .size:           2
        .value_kind:     by_value
      - .offset:         8
        .size:           8
        .value_kind:     by_value
      - .address_space:  global
        .offset:         16
        .size:           8
        .value_kind:     global_buffer
      - .offset:         24
        .size:           8
        .value_kind:     by_value
      - .offset:         32
        .size:           8
        .value_kind:     by_value
      - .address_space:  global
        .offset:         40
        .size:           8
        .value_kind:     global_buffer
      - .offset:         48
        .size:           8
        .value_kind:     by_value
      - .offset:         56
        .size:           8
        .value_kind:     by_value
      - .offset:         64
        .size:           4
        .value_kind:     by_value
    .group_segment_fixed_size: 0
    .kernarg_segment_align: 8
    .kernarg_segment_size: 68
    .language:       OpenCL C
    .language_version:
      - 2
      - 0
    .max_flat_workgroup_size: 256
    .name:           _ZL26rocblas_haxpy_mlt_8_kernelILi256EDF16_PKPKdPKPdEviT0_lT1_llT2_lli
    .private_segment_fixed_size: 0
    .sgpr_count:     20
    .sgpr_spill_count: 0
    .symbol:         _ZL26rocblas_haxpy_mlt_8_kernelILi256EDF16_PKPKdPKPdEviT0_lT1_llT2_lli.kd
    .uniform_work_group_size: 1
    .uses_dynamic_stack: false
    .vgpr_count:     14
    .vgpr_spill_count: 0
    .wavefront_size: 32
  - .args:
      - .offset:         0
        .size:           4
        .value_kind:     by_value
      - .offset:         8
        .size:           8
        .value_kind:     by_value
      - .offset:         16
        .size:           8
        .value_kind:     by_value
      - .address_space:  global
        .offset:         24
        .size:           8
        .value_kind:     global_buffer
      - .offset:         32
        .size:           8
        .value_kind:     by_value
      - .offset:         40
        .size:           8
        .value_kind:     by_value
      - .address_space:  global
        .offset:         48
        .size:           8
        .value_kind:     global_buffer
      - .offset:         56
        .size:           8
        .value_kind:     by_value
      - .offset:         64
        .size:           8
        .value_kind:     by_value
      - .offset:         72
        .size:           4
        .value_kind:     by_value
    .group_segment_fixed_size: 0
    .kernarg_segment_align: 8
    .kernarg_segment_size: 76
    .language:       OpenCL C
    .language_version:
      - 2
      - 0
    .max_flat_workgroup_size: 256
    .name:           _ZL26rocblas_haxpy_mod_8_kernelILi256EdPKPKdPKPdEviT0_lT1_llT2_lli
    .private_segment_fixed_size: 0
    .sgpr_count:     20
    .sgpr_spill_count: 0
    .symbol:         _ZL26rocblas_haxpy_mod_8_kernelILi256EdPKPKdPKPdEviT0_lT1_llT2_lli.kd
    .uniform_work_group_size: 1
    .uses_dynamic_stack: false
    .vgpr_count:     10
    .vgpr_spill_count: 0
    .wavefront_size: 32
  - .args:
      - .offset:         0
        .size:           4
        .value_kind:     by_value
      - .address_space:  global
        .offset:         8
        .size:           8
        .value_kind:     global_buffer
      - .offset:         16
        .size:           8
        .value_kind:     by_value
      - .actual_access:  read_only
        .address_space:  global
        .offset:         24
        .size:           8
        .value_kind:     global_buffer
      - .offset:         32
        .size:           8
        .value_kind:     by_value
      - .offset:         40
        .size:           8
        .value_kind:     by_value
      - .actual_access:  read_only
        .address_space:  global
        .offset:         48
        .size:           8
        .value_kind:     global_buffer
      - .offset:         56
        .size:           8
        .value_kind:     by_value
      - .offset:         64
        .size:           8
        .value_kind:     by_value
      - .offset:         72
        .size:           4
        .value_kind:     by_value
    .group_segment_fixed_size: 0
    .kernarg_segment_align: 8
    .kernarg_segment_size: 76
    .language:       OpenCL C
    .language_version:
      - 2
      - 0
    .max_flat_workgroup_size: 256
    .name:           _ZL22rocblas_saxpy_2_kernelILi256EdPKdPKS1_PKPdEviT1_lT2_llT3_lli
    .private_segment_fixed_size: 0
    .sgpr_count:     28
    .sgpr_spill_count: 0
    .symbol:         _ZL22rocblas_saxpy_2_kernelILi256EdPKdPKS1_PKPdEviT1_lT2_llT3_lli.kd
    .uniform_work_group_size: 1
    .uses_dynamic_stack: false
    .vgpr_count:     16
    .vgpr_spill_count: 0
    .wavefront_size: 32
  - .args:
      - .offset:         0
        .size:           4
        .value_kind:     by_value
      - .offset:         8
        .size:           8
        .value_kind:     by_value
      - .offset:         16
        .size:           8
        .value_kind:     by_value
      - .actual_access:  read_only
        .address_space:  global
        .offset:         24
        .size:           8
        .value_kind:     global_buffer
      - .offset:         32
        .size:           8
        .value_kind:     by_value
      - .offset:         40
        .size:           8
        .value_kind:     by_value
      - .actual_access:  read_only
        .address_space:  global
        .offset:         48
        .size:           8
        .value_kind:     global_buffer
      - .offset:         56
        .size:           8
        .value_kind:     by_value
      - .offset:         64
        .size:           8
        .value_kind:     by_value
      - .offset:         72
        .size:           4
        .value_kind:     by_value
    .group_segment_fixed_size: 0
    .kernarg_segment_align: 8
    .kernarg_segment_size: 76
    .language:       OpenCL C
    .language_version:
      - 2
      - 0
    .max_flat_workgroup_size: 256
    .name:           _ZL22rocblas_saxpy_2_kernelILi256EddPKPKdPKPdEviT1_lT2_llT3_lli
    .private_segment_fixed_size: 0
    .sgpr_count:     22
    .sgpr_spill_count: 0
    .symbol:         _ZL22rocblas_saxpy_2_kernelILi256EddPKPKdPKPdEviT1_lT2_llT3_lli.kd
    .uniform_work_group_size: 1
    .uses_dynamic_stack: false
    .vgpr_count:     12
    .vgpr_spill_count: 0
    .wavefront_size: 32
  - .args:
      - .offset:         0
        .size:           4
        .value_kind:     by_value
      - .address_space:  global
        .offset:         8
        .size:           8
        .value_kind:     global_buffer
      - .offset:         16
        .size:           8
        .value_kind:     by_value
      - .address_space:  global
        .offset:         24
        .size:           8
        .value_kind:     global_buffer
      - .offset:         32
        .size:           8
        .value_kind:     by_value
      - .offset:         40
        .size:           4
        .value_kind:     by_value
      - .offset:         48
        .size:           8
        .value_kind:     by_value
      - .address_space:  global
        .offset:         56
        .size:           8
        .value_kind:     global_buffer
      - .offset:         64
        .size:           8
        .value_kind:     by_value
      - .offset:         72
        .size:           4
        .value_kind:     by_value
      - .offset:         80
        .size:           8
        .value_kind:     by_value
      - .offset:         88
        .size:           4
        .value_kind:     by_value
      - .offset:         96
        .size:           4
        .value_kind:     hidden_block_count_x
      - .offset:         100
        .size:           4
        .value_kind:     hidden_block_count_y
      - .offset:         104
        .size:           4
        .value_kind:     hidden_block_count_z
      - .offset:         108
        .size:           2
        .value_kind:     hidden_group_size_x
      - .offset:         110
        .size:           2
        .value_kind:     hidden_group_size_y
      - .offset:         112
        .size:           2
        .value_kind:     hidden_group_size_z
      - .offset:         114
        .size:           2
        .value_kind:     hidden_remainder_x
      - .offset:         116
        .size:           2
        .value_kind:     hidden_remainder_y
      - .offset:         118
        .size:           2
        .value_kind:     hidden_remainder_z
      - .offset:         136
        .size:           8
        .value_kind:     hidden_global_offset_x
      - .offset:         144
        .size:           8
        .value_kind:     hidden_global_offset_y
      - .offset:         152
        .size:           8
        .value_kind:     hidden_global_offset_z
      - .offset:         160
        .size:           2
        .value_kind:     hidden_grid_dims
    .group_segment_fixed_size: 0
    .kernarg_segment_align: 8
    .kernarg_segment_size: 352
    .language:       OpenCL C
    .language_version:
      - 2
      - 0
    .max_flat_workgroup_size: 1024
    .name:           _ZL27rocblas_axpy_kernel_batchedIiLi128ELi8EdPKdPKS1_PKPdEviT3_lT4_lT_lT5_lS9_li
    .private_segment_fixed_size: 0
    .sgpr_count:     18
    .sgpr_spill_count: 0
    .symbol:         _ZL27rocblas_axpy_kernel_batchedIiLi128ELi8EdPKdPKS1_PKPdEviT3_lT4_lT_lT5_lS9_li.kd
    .uniform_work_group_size: 1
    .uses_dynamic_stack: false
    .vgpr_count:     16
    .vgpr_spill_count: 0
    .wavefront_size: 32
  - .args:
      - .offset:         0
        .size:           4
        .value_kind:     by_value
      - .offset:         8
        .size:           8
        .value_kind:     by_value
      - .offset:         16
        .size:           8
        .value_kind:     by_value
      - .address_space:  global
        .offset:         24
        .size:           8
        .value_kind:     global_buffer
      - .offset:         32
        .size:           8
        .value_kind:     by_value
      - .offset:         40
        .size:           4
        .value_kind:     by_value
      - .offset:         48
        .size:           8
        .value_kind:     by_value
      - .address_space:  global
        .offset:         56
        .size:           8
        .value_kind:     global_buffer
      - .offset:         64
        .size:           8
        .value_kind:     by_value
      - .offset:         72
        .size:           4
        .value_kind:     by_value
      - .offset:         80
        .size:           8
        .value_kind:     by_value
      - .offset:         88
        .size:           4
        .value_kind:     by_value
      - .offset:         96
        .size:           4
        .value_kind:     hidden_block_count_x
      - .offset:         100
        .size:           4
        .value_kind:     hidden_block_count_y
      - .offset:         104
        .size:           4
        .value_kind:     hidden_block_count_z
      - .offset:         108
        .size:           2
        .value_kind:     hidden_group_size_x
      - .offset:         110
        .size:           2
        .value_kind:     hidden_group_size_y
      - .offset:         112
        .size:           2
        .value_kind:     hidden_group_size_z
      - .offset:         114
        .size:           2
        .value_kind:     hidden_remainder_x
      - .offset:         116
        .size:           2
        .value_kind:     hidden_remainder_y
      - .offset:         118
        .size:           2
        .value_kind:     hidden_remainder_z
      - .offset:         136
        .size:           8
        .value_kind:     hidden_global_offset_x
      - .offset:         144
        .size:           8
        .value_kind:     hidden_global_offset_y
      - .offset:         152
        .size:           8
        .value_kind:     hidden_global_offset_z
      - .offset:         160
        .size:           2
        .value_kind:     hidden_grid_dims
    .group_segment_fixed_size: 0
    .kernarg_segment_align: 8
    .kernarg_segment_size: 352
    .language:       OpenCL C
    .language_version:
      - 2
      - 0
    .max_flat_workgroup_size: 1024
    .name:           _ZL27rocblas_axpy_kernel_batchedIiLi128ELi8EddPKPKdPKPdEviT3_lT4_lT_lT5_lS9_li
    .private_segment_fixed_size: 0
    .sgpr_count:     18
    .sgpr_spill_count: 0
    .symbol:         _ZL27rocblas_axpy_kernel_batchedIiLi128ELi8EddPKPKdPKPdEviT3_lT4_lT_lT5_lS9_li.kd
    .uniform_work_group_size: 1
    .uses_dynamic_stack: false
    .vgpr_count:     14
    .vgpr_spill_count: 0
    .wavefront_size: 32
  - .args:
      - .offset:         0
        .size:           4
        .value_kind:     by_value
      - .address_space:  global
        .offset:         8
        .size:           8
        .value_kind:     global_buffer
      - .offset:         16
        .size:           8
        .value_kind:     by_value
      - .actual_access:  read_only
        .address_space:  global
        .offset:         24
        .size:           8
        .value_kind:     global_buffer
      - .offset:         32
        .size:           8
        .value_kind:     by_value
      - .offset:         40
        .size:           4
        .value_kind:     by_value
      - .offset:         48
        .size:           8
        .value_kind:     by_value
      - .actual_access:  read_only
        .address_space:  global
        .offset:         56
        .size:           8
        .value_kind:     global_buffer
      - .offset:         64
        .size:           8
        .value_kind:     by_value
      - .offset:         72
        .size:           4
        .value_kind:     by_value
      - .offset:         80
        .size:           8
        .value_kind:     by_value
      - .offset:         88
        .size:           4
        .value_kind:     by_value
    .group_segment_fixed_size: 0
    .kernarg_segment_align: 8
    .kernarg_segment_size: 92
    .language:       OpenCL C
    .language_version:
      - 2
      - 0
    .max_flat_workgroup_size: 256
    .name:           _ZL19rocblas_axpy_kernelIiLi256EdPKdPKS1_PKPdEviT2_lT3_lT_lT4_lS9_li
    .private_segment_fixed_size: 0
    .sgpr_count:     28
    .sgpr_spill_count: 0
    .symbol:         _ZL19rocblas_axpy_kernelIiLi256EdPKdPKS1_PKPdEviT2_lT3_lT_lT4_lS9_li.kd
    .uniform_work_group_size: 1
    .uses_dynamic_stack: false
    .vgpr_count:     16
    .vgpr_spill_count: 0
    .wavefront_size: 32
  - .args:
      - .offset:         0
        .size:           4
        .value_kind:     by_value
      - .offset:         8
        .size:           8
        .value_kind:     by_value
      - .offset:         16
        .size:           8
        .value_kind:     by_value
      - .actual_access:  read_only
        .address_space:  global
        .offset:         24
        .size:           8
        .value_kind:     global_buffer
      - .offset:         32
        .size:           8
        .value_kind:     by_value
      - .offset:         40
        .size:           4
        .value_kind:     by_value
      - .offset:         48
        .size:           8
        .value_kind:     by_value
      - .actual_access:  read_only
        .address_space:  global
        .offset:         56
        .size:           8
        .value_kind:     global_buffer
      - .offset:         64
        .size:           8
        .value_kind:     by_value
      - .offset:         72
        .size:           4
        .value_kind:     by_value
      - .offset:         80
        .size:           8
        .value_kind:     by_value
      - .offset:         88
        .size:           4
        .value_kind:     by_value
    .group_segment_fixed_size: 0
    .kernarg_segment_align: 8
    .kernarg_segment_size: 92
    .language:       OpenCL C
    .language_version:
      - 2
      - 0
    .max_flat_workgroup_size: 256
    .name:           _ZL19rocblas_axpy_kernelIiLi256EddPKPKdPKPdEviT2_lT3_lT_lT4_lS9_li
    .private_segment_fixed_size: 0
    .sgpr_count:     22
    .sgpr_spill_count: 0
    .symbol:         _ZL19rocblas_axpy_kernelIiLi256EddPKPKdPKPdEviT2_lT3_lT_lT4_lS9_li.kd
    .uniform_work_group_size: 1
    .uses_dynamic_stack: false
    .vgpr_count:     12
    .vgpr_spill_count: 0
    .wavefront_size: 32
  - .args:
      - .offset:         0
        .size:           4
        .value_kind:     by_value
      - .address_space:  global
        .offset:         8
        .size:           8
        .value_kind:     global_buffer
      - .offset:         16
        .size:           8
        .value_kind:     by_value
      - .actual_access:  read_only
        .address_space:  global
        .offset:         24
        .size:           8
        .value_kind:     global_buffer
      - .offset:         32
        .size:           8
        .value_kind:     by_value
      - .offset:         40
        .size:           8
        .value_kind:     by_value
      - .offset:         48
        .size:           8
        .value_kind:     by_value
      - .actual_access:  read_only
        .address_space:  global
        .offset:         56
        .size:           8
        .value_kind:     global_buffer
      - .offset:         64
        .size:           8
        .value_kind:     by_value
      - .offset:         72
        .size:           8
        .value_kind:     by_value
      - .offset:         80
        .size:           8
        .value_kind:     by_value
      - .offset:         88
        .size:           4
        .value_kind:     by_value
    .group_segment_fixed_size: 0
    .kernarg_segment_align: 8
    .kernarg_segment_size: 92
    .language:       OpenCL C
    .language_version:
      - 2
      - 0
    .max_flat_workgroup_size: 256
    .name:           _ZL19rocblas_axpy_kernelIlLi256EdPKdPKS1_PKPdEviT2_lT3_lT_lT4_lS9_li
    .private_segment_fixed_size: 0
    .sgpr_count:     28
    .sgpr_spill_count: 0
    .symbol:         _ZL19rocblas_axpy_kernelIlLi256EdPKdPKS1_PKPdEviT2_lT3_lT_lT4_lS9_li.kd
    .uniform_work_group_size: 1
    .uses_dynamic_stack: false
    .vgpr_count:     16
    .vgpr_spill_count: 0
    .wavefront_size: 32
  - .args:
      - .offset:         0
        .size:           4
        .value_kind:     by_value
      - .offset:         8
        .size:           8
        .value_kind:     by_value
      - .offset:         16
        .size:           8
        .value_kind:     by_value
      - .actual_access:  read_only
        .address_space:  global
        .offset:         24
        .size:           8
        .value_kind:     global_buffer
      - .offset:         32
        .size:           8
        .value_kind:     by_value
      - .offset:         40
        .size:           8
        .value_kind:     by_value
      - .offset:         48
        .size:           8
        .value_kind:     by_value
      - .actual_access:  read_only
        .address_space:  global
        .offset:         56
        .size:           8
        .value_kind:     global_buffer
      - .offset:         64
        .size:           8
        .value_kind:     by_value
      - .offset:         72
        .size:           8
        .value_kind:     by_value
      - .offset:         80
        .size:           8
        .value_kind:     by_value
      - .offset:         88
        .size:           4
        .value_kind:     by_value
    .group_segment_fixed_size: 0
    .kernarg_segment_align: 8
    .kernarg_segment_size: 92
    .language:       OpenCL C
    .language_version:
      - 2
      - 0
    .max_flat_workgroup_size: 256
    .name:           _ZL19rocblas_axpy_kernelIlLi256EddPKPKdPKPdEviT2_lT3_lT_lT4_lS9_li
    .private_segment_fixed_size: 0
    .sgpr_count:     26
    .sgpr_spill_count: 0
    .symbol:         _ZL19rocblas_axpy_kernelIlLi256EddPKPKdPKPdEviT2_lT3_lT_lT4_lS9_li.kd
    .uniform_work_group_size: 1
    .uses_dynamic_stack: false
    .vgpr_count:     12
    .vgpr_spill_count: 0
    .wavefront_size: 32
  - .args:
      - .offset:         0
        .size:           4
        .value_kind:     by_value
      - .address_space:  global
        .offset:         8
        .size:           8
        .value_kind:     global_buffer
      - .offset:         16
        .size:           8
        .value_kind:     by_value
      - .address_space:  global
        .offset:         24
        .size:           8
        .value_kind:     global_buffer
      - .offset:         32
        .size:           8
        .value_kind:     by_value
      - .offset:         40
        .size:           8
        .value_kind:     by_value
      - .address_space:  global
        .offset:         48
        .size:           8
        .value_kind:     global_buffer
      - .offset:         56
        .size:           8
        .value_kind:     by_value
      - .offset:         64
        .size:           8
        .value_kind:     by_value
      - .offset:         72
        .size:           4
        .value_kind:     by_value
    .group_segment_fixed_size: 0
    .kernarg_segment_align: 8
    .kernarg_segment_size: 76
    .language:       OpenCL C
    .language_version:
      - 2
      - 0
    .max_flat_workgroup_size: 256
    .name:           _ZL26rocblas_haxpy_mlt_8_kernelILi256EPKDF16_PKPK19rocblas_complex_numIfEPKPS3_EviT0_lT1_llT2_lli
    .private_segment_fixed_size: 0
    .sgpr_count:     24
    .sgpr_spill_count: 0
    .symbol:         _ZL26rocblas_haxpy_mlt_8_kernelILi256EPKDF16_PKPK19rocblas_complex_numIfEPKPS3_EviT0_lT1_llT2_lli.kd
    .uniform_work_group_size: 1
    .uses_dynamic_stack: false
    .vgpr_count:     16
    .vgpr_spill_count: 0
    .wavefront_size: 32
  - .args:
      - .offset:         0
        .size:           4
        .value_kind:     by_value
      - .address_space:  global
        .offset:         8
        .size:           8
        .value_kind:     global_buffer
      - .offset:         16
        .size:           8
        .value_kind:     by_value
      - .address_space:  global
        .offset:         24
        .size:           8
        .value_kind:     global_buffer
      - .offset:         32
        .size:           8
        .value_kind:     by_value
      - .offset:         40
        .size:           8
        .value_kind:     by_value
      - .address_space:  global
        .offset:         48
        .size:           8
        .value_kind:     global_buffer
      - .offset:         56
        .size:           8
        .value_kind:     by_value
      - .offset:         64
        .size:           8
        .value_kind:     by_value
      - .offset:         72
        .size:           4
        .value_kind:     by_value
    .group_segment_fixed_size: 0
    .kernarg_segment_align: 8
    .kernarg_segment_size: 76
    .language:       OpenCL C
    .language_version:
      - 2
      - 0
    .max_flat_workgroup_size: 256
    .name:           _ZL26rocblas_haxpy_mod_8_kernelILi256EPK19rocblas_complex_numIfEPKS3_PKPS1_EviT0_lT1_llT2_lli
    .private_segment_fixed_size: 0
    .sgpr_count:     24
    .sgpr_spill_count: 0
    .symbol:         _ZL26rocblas_haxpy_mod_8_kernelILi256EPK19rocblas_complex_numIfEPKS3_PKPS1_EviT0_lT1_llT2_lli.kd
    .uniform_work_group_size: 1
    .uses_dynamic_stack: false
    .vgpr_count:     14
    .vgpr_spill_count: 0
    .wavefront_size: 32
  - .args:
      - .offset:         0
        .size:           4
        .value_kind:     by_value
      - .offset:         4
        .size:           2
        .value_kind:     by_value
      - .offset:         8
        .size:           8
        .value_kind:     by_value
      - .address_space:  global
        .offset:         16
        .size:           8
        .value_kind:     global_buffer
      - .offset:         24
        .size:           8
        .value_kind:     by_value
      - .offset:         32
        .size:           8
        .value_kind:     by_value
      - .address_space:  global
        .offset:         40
        .size:           8
        .value_kind:     global_buffer
      - .offset:         48
        .size:           8
        .value_kind:     by_value
      - .offset:         56
        .size:           8
        .value_kind:     by_value
      - .offset:         64
        .size:           4
        .value_kind:     by_value
    .group_segment_fixed_size: 0
    .kernarg_segment_align: 8
    .kernarg_segment_size: 68
    .language:       OpenCL C
    .language_version:
      - 2
      - 0
    .max_flat_workgroup_size: 256
    .name:           _ZL26rocblas_haxpy_mlt_8_kernelILi256EDF16_PKPK19rocblas_complex_numIfEPKPS1_EviT0_lT1_llT2_lli
    .private_segment_fixed_size: 0
    .sgpr_count:     20
    .sgpr_spill_count: 0
    .symbol:         _ZL26rocblas_haxpy_mlt_8_kernelILi256EDF16_PKPK19rocblas_complex_numIfEPKPS1_EviT0_lT1_llT2_lli.kd
    .uniform_work_group_size: 1
    .uses_dynamic_stack: false
    .vgpr_count:     14
    .vgpr_spill_count: 0
    .wavefront_size: 32
  - .args:
      - .offset:         0
        .size:           4
        .value_kind:     by_value
      - .offset:         4
        .size:           8
        .value_kind:     by_value
      - .offset:         16
        .size:           8
        .value_kind:     by_value
      - .address_space:  global
        .offset:         24
        .size:           8
        .value_kind:     global_buffer
      - .offset:         32
        .size:           8
        .value_kind:     by_value
      - .offset:         40
        .size:           8
        .value_kind:     by_value
      - .address_space:  global
        .offset:         48
        .size:           8
        .value_kind:     global_buffer
      - .offset:         56
        .size:           8
        .value_kind:     by_value
      - .offset:         64
        .size:           8
        .value_kind:     by_value
      - .offset:         72
        .size:           4
        .value_kind:     by_value
    .group_segment_fixed_size: 0
    .kernarg_segment_align: 8
    .kernarg_segment_size: 76
    .language:       OpenCL C
    .language_version:
      - 2
      - 0
    .max_flat_workgroup_size: 256
    .name:           _ZL26rocblas_haxpy_mod_8_kernelILi256E19rocblas_complex_numIfEPKPKS1_PKPS1_EviT0_lT1_llT2_lli
    .private_segment_fixed_size: 0
    .sgpr_count:     19
    .sgpr_spill_count: 0
    .symbol:         _ZL26rocblas_haxpy_mod_8_kernelILi256E19rocblas_complex_numIfEPKPKS1_PKPS1_EviT0_lT1_llT2_lli.kd
    .uniform_work_group_size: 1
    .uses_dynamic_stack: false
    .vgpr_count:     14
    .vgpr_spill_count: 0
    .wavefront_size: 32
  - .args:
      - .offset:         0
        .size:           4
        .value_kind:     by_value
      - .address_space:  global
        .offset:         8
        .size:           8
        .value_kind:     global_buffer
      - .offset:         16
        .size:           8
        .value_kind:     by_value
      - .actual_access:  read_only
        .address_space:  global
        .offset:         24
        .size:           8
        .value_kind:     global_buffer
      - .offset:         32
        .size:           8
        .value_kind:     by_value
      - .offset:         40
        .size:           8
        .value_kind:     by_value
      - .actual_access:  read_only
        .address_space:  global
        .offset:         48
        .size:           8
        .value_kind:     global_buffer
      - .offset:         56
        .size:           8
        .value_kind:     by_value
      - .offset:         64
        .size:           8
        .value_kind:     by_value
      - .offset:         72
        .size:           4
        .value_kind:     by_value
    .group_segment_fixed_size: 0
    .kernarg_segment_align: 8
    .kernarg_segment_size: 76
    .language:       OpenCL C
    .language_version:
      - 2
      - 0
    .max_flat_workgroup_size: 256
    .name:           _ZL22rocblas_saxpy_2_kernelILi256E19rocblas_complex_numIfEPKS1_PKS3_PKPS1_EviT1_lT2_llT3_lli
    .private_segment_fixed_size: 0
    .sgpr_count:     28
    .sgpr_spill_count: 0
    .symbol:         _ZL22rocblas_saxpy_2_kernelILi256E19rocblas_complex_numIfEPKS1_PKS3_PKPS1_EviT1_lT2_llT3_lli.kd
    .uniform_work_group_size: 1
    .uses_dynamic_stack: false
    .vgpr_count:     20
    .vgpr_spill_count: 0
    .wavefront_size: 32
  - .args:
      - .offset:         0
        .size:           4
        .value_kind:     by_value
      - .offset:         4
        .size:           8
        .value_kind:     by_value
      - .offset:         16
        .size:           8
        .value_kind:     by_value
      - .actual_access:  read_only
        .address_space:  global
        .offset:         24
        .size:           8
        .value_kind:     global_buffer
      - .offset:         32
        .size:           8
        .value_kind:     by_value
      - .offset:         40
        .size:           8
        .value_kind:     by_value
      - .actual_access:  read_only
        .address_space:  global
        .offset:         48
        .size:           8
        .value_kind:     global_buffer
      - .offset:         56
        .size:           8
        .value_kind:     by_value
      - .offset:         64
        .size:           8
        .value_kind:     by_value
      - .offset:         72
        .size:           4
        .value_kind:     by_value
    .group_segment_fixed_size: 0
    .kernarg_segment_align: 8
    .kernarg_segment_size: 76
    .language:       OpenCL C
    .language_version:
      - 2
      - 0
    .max_flat_workgroup_size: 256
    .name:           _ZL22rocblas_saxpy_2_kernelILi256E19rocblas_complex_numIfES1_PKPKS1_PKPS1_EviT1_lT2_llT3_lli
    .private_segment_fixed_size: 0
    .sgpr_count:     24
    .sgpr_spill_count: 0
    .symbol:         _ZL22rocblas_saxpy_2_kernelILi256E19rocblas_complex_numIfES1_PKPKS1_PKPS1_EviT1_lT2_llT3_lli.kd
    .uniform_work_group_size: 1
    .uses_dynamic_stack: false
    .vgpr_count:     20
    .vgpr_spill_count: 0
    .wavefront_size: 32
  - .args:
      - .offset:         0
        .size:           4
        .value_kind:     by_value
      - .address_space:  global
        .offset:         8
        .size:           8
        .value_kind:     global_buffer
      - .offset:         16
        .size:           8
        .value_kind:     by_value
      - .address_space:  global
        .offset:         24
        .size:           8
        .value_kind:     global_buffer
      - .offset:         32
        .size:           8
        .value_kind:     by_value
      - .offset:         40
        .size:           4
        .value_kind:     by_value
      - .offset:         48
        .size:           8
        .value_kind:     by_value
      - .address_space:  global
        .offset:         56
        .size:           8
        .value_kind:     global_buffer
      - .offset:         64
        .size:           8
        .value_kind:     by_value
      - .offset:         72
        .size:           4
        .value_kind:     by_value
      - .offset:         80
        .size:           8
        .value_kind:     by_value
      - .offset:         88
        .size:           4
        .value_kind:     by_value
      - .offset:         96
        .size:           4
        .value_kind:     hidden_block_count_x
      - .offset:         100
        .size:           4
        .value_kind:     hidden_block_count_y
      - .offset:         104
        .size:           4
        .value_kind:     hidden_block_count_z
      - .offset:         108
        .size:           2
        .value_kind:     hidden_group_size_x
      - .offset:         110
        .size:           2
        .value_kind:     hidden_group_size_y
      - .offset:         112
        .size:           2
        .value_kind:     hidden_group_size_z
      - .offset:         114
        .size:           2
        .value_kind:     hidden_remainder_x
      - .offset:         116
        .size:           2
        .value_kind:     hidden_remainder_y
      - .offset:         118
        .size:           2
        .value_kind:     hidden_remainder_z
      - .offset:         136
        .size:           8
        .value_kind:     hidden_global_offset_x
      - .offset:         144
        .size:           8
        .value_kind:     hidden_global_offset_y
      - .offset:         152
        .size:           8
        .value_kind:     hidden_global_offset_z
      - .offset:         160
        .size:           2
        .value_kind:     hidden_grid_dims
    .group_segment_fixed_size: 0
    .kernarg_segment_align: 8
    .kernarg_segment_size: 352
    .language:       OpenCL C
    .language_version:
      - 2
      - 0
    .max_flat_workgroup_size: 1024
    .name:           _ZL27rocblas_axpy_kernel_batchedIiLi128ELi8E19rocblas_complex_numIfEPKS1_PKS3_PKPS1_EviT3_lT4_lT_lT5_lSB_li
    .private_segment_fixed_size: 0
    .sgpr_count:     18
    .sgpr_spill_count: 0
    .symbol:         _ZL27rocblas_axpy_kernel_batchedIiLi128ELi8E19rocblas_complex_numIfEPKS1_PKS3_PKPS1_EviT3_lT4_lT_lT5_lSB_li.kd
    .uniform_work_group_size: 1
    .uses_dynamic_stack: false
    .vgpr_count:     18
    .vgpr_spill_count: 0
    .wavefront_size: 32
  - .args:
      - .offset:         0
        .size:           4
        .value_kind:     by_value
      - .offset:         4
        .size:           8
        .value_kind:     by_value
      - .offset:         16
        .size:           8
        .value_kind:     by_value
      - .address_space:  global
        .offset:         24
        .size:           8
        .value_kind:     global_buffer
      - .offset:         32
        .size:           8
        .value_kind:     by_value
      - .offset:         40
        .size:           4
        .value_kind:     by_value
      - .offset:         48
        .size:           8
        .value_kind:     by_value
      - .address_space:  global
        .offset:         56
        .size:           8
        .value_kind:     global_buffer
      - .offset:         64
        .size:           8
        .value_kind:     by_value
      - .offset:         72
        .size:           4
        .value_kind:     by_value
      - .offset:         80
        .size:           8
        .value_kind:     by_value
      - .offset:         88
        .size:           4
        .value_kind:     by_value
      - .offset:         96
        .size:           4
        .value_kind:     hidden_block_count_x
      - .offset:         100
        .size:           4
        .value_kind:     hidden_block_count_y
      - .offset:         104
        .size:           4
        .value_kind:     hidden_block_count_z
      - .offset:         108
        .size:           2
        .value_kind:     hidden_group_size_x
      - .offset:         110
        .size:           2
        .value_kind:     hidden_group_size_y
      - .offset:         112
        .size:           2
        .value_kind:     hidden_group_size_z
      - .offset:         114
        .size:           2
        .value_kind:     hidden_remainder_x
      - .offset:         116
        .size:           2
        .value_kind:     hidden_remainder_y
      - .offset:         118
        .size:           2
        .value_kind:     hidden_remainder_z
      - .offset:         136
        .size:           8
        .value_kind:     hidden_global_offset_x
      - .offset:         144
        .size:           8
        .value_kind:     hidden_global_offset_y
      - .offset:         152
        .size:           8
        .value_kind:     hidden_global_offset_z
      - .offset:         160
        .size:           2
        .value_kind:     hidden_grid_dims
    .group_segment_fixed_size: 0
    .kernarg_segment_align: 8
    .kernarg_segment_size: 352
    .language:       OpenCL C
    .language_version:
      - 2
      - 0
    .max_flat_workgroup_size: 1024
    .name:           _ZL27rocblas_axpy_kernel_batchedIiLi128ELi8E19rocblas_complex_numIfES1_PKPKS1_PKPS1_EviT3_lT4_lT_lT5_lSB_li
    .private_segment_fixed_size: 0
    .sgpr_count:     21
    .sgpr_spill_count: 0
    .symbol:         _ZL27rocblas_axpy_kernel_batchedIiLi128ELi8E19rocblas_complex_numIfES1_PKPKS1_PKPS1_EviT3_lT4_lT_lT5_lSB_li.kd
    .uniform_work_group_size: 1
    .uses_dynamic_stack: false
    .vgpr_count:     18
    .vgpr_spill_count: 0
    .wavefront_size: 32
  - .args:
      - .offset:         0
        .size:           4
        .value_kind:     by_value
      - .address_space:  global
        .offset:         8
        .size:           8
        .value_kind:     global_buffer
      - .offset:         16
        .size:           8
        .value_kind:     by_value
      - .actual_access:  read_only
        .address_space:  global
        .offset:         24
        .size:           8
        .value_kind:     global_buffer
      - .offset:         32
        .size:           8
        .value_kind:     by_value
      - .offset:         40
        .size:           4
        .value_kind:     by_value
      - .offset:         48
        .size:           8
        .value_kind:     by_value
      - .actual_access:  read_only
        .address_space:  global
        .offset:         56
        .size:           8
        .value_kind:     global_buffer
      - .offset:         64
        .size:           8
        .value_kind:     by_value
      - .offset:         72
        .size:           4
        .value_kind:     by_value
      - .offset:         80
        .size:           8
        .value_kind:     by_value
      - .offset:         88
        .size:           4
        .value_kind:     by_value
    .group_segment_fixed_size: 0
    .kernarg_segment_align: 8
    .kernarg_segment_size: 92
    .language:       OpenCL C
    .language_version:
      - 2
      - 0
    .max_flat_workgroup_size: 256
    .name:           _ZL19rocblas_axpy_kernelIiLi256E19rocblas_complex_numIfEPKS1_PKS3_PKPS1_EviT2_lT3_lT_lT4_lSB_li
    .private_segment_fixed_size: 0
    .sgpr_count:     24
    .sgpr_spill_count: 0
    .symbol:         _ZL19rocblas_axpy_kernelIiLi256E19rocblas_complex_numIfEPKS1_PKS3_PKPS1_EviT2_lT3_lT_lT4_lSB_li.kd
    .uniform_work_group_size: 1
    .uses_dynamic_stack: false
    .vgpr_count:     16
    .vgpr_spill_count: 0
    .wavefront_size: 32
  - .args:
      - .offset:         0
        .size:           4
        .value_kind:     by_value
      - .offset:         4
        .size:           8
        .value_kind:     by_value
      - .offset:         16
        .size:           8
        .value_kind:     by_value
      - .actual_access:  read_only
        .address_space:  global
        .offset:         24
        .size:           8
        .value_kind:     global_buffer
      - .offset:         32
        .size:           8
        .value_kind:     by_value
      - .offset:         40
        .size:           4
        .value_kind:     by_value
      - .offset:         48
        .size:           8
        .value_kind:     by_value
      - .actual_access:  read_only
        .address_space:  global
        .offset:         56
        .size:           8
        .value_kind:     global_buffer
      - .offset:         64
        .size:           8
        .value_kind:     by_value
      - .offset:         72
        .size:           4
        .value_kind:     by_value
      - .offset:         80
        .size:           8
        .value_kind:     by_value
      - .offset:         88
        .size:           4
        .value_kind:     by_value
    .group_segment_fixed_size: 0
    .kernarg_segment_align: 8
    .kernarg_segment_size: 92
    .language:       OpenCL C
    .language_version:
      - 2
      - 0
    .max_flat_workgroup_size: 256
    .name:           _ZL19rocblas_axpy_kernelIiLi256E19rocblas_complex_numIfES1_PKPKS1_PKPS1_EviT2_lT3_lT_lT4_lSB_li
    .private_segment_fixed_size: 0
    .sgpr_count:     22
    .sgpr_spill_count: 0
    .symbol:         _ZL19rocblas_axpy_kernelIiLi256E19rocblas_complex_numIfES1_PKPKS1_PKPS1_EviT2_lT3_lT_lT4_lSB_li.kd
    .uniform_work_group_size: 1
    .uses_dynamic_stack: false
    .vgpr_count:     16
    .vgpr_spill_count: 0
    .wavefront_size: 32
  - .args:
      - .offset:         0
        .size:           4
        .value_kind:     by_value
      - .address_space:  global
        .offset:         8
        .size:           8
        .value_kind:     global_buffer
      - .offset:         16
        .size:           8
        .value_kind:     by_value
      - .actual_access:  read_only
        .address_space:  global
        .offset:         24
        .size:           8
        .value_kind:     global_buffer
      - .offset:         32
        .size:           8
        .value_kind:     by_value
      - .offset:         40
        .size:           8
        .value_kind:     by_value
      - .offset:         48
        .size:           8
        .value_kind:     by_value
      - .actual_access:  read_only
        .address_space:  global
        .offset:         56
        .size:           8
        .value_kind:     global_buffer
      - .offset:         64
        .size:           8
        .value_kind:     by_value
      - .offset:         72
        .size:           8
        .value_kind:     by_value
      - .offset:         80
        .size:           8
        .value_kind:     by_value
      - .offset:         88
        .size:           4
        .value_kind:     by_value
    .group_segment_fixed_size: 0
    .kernarg_segment_align: 8
    .kernarg_segment_size: 92
    .language:       OpenCL C
    .language_version:
      - 2
      - 0
    .max_flat_workgroup_size: 256
    .name:           _ZL19rocblas_axpy_kernelIlLi256E19rocblas_complex_numIfEPKS1_PKS3_PKPS1_EviT2_lT3_lT_lT4_lSB_li
    .private_segment_fixed_size: 0
    .sgpr_count:     26
    .sgpr_spill_count: 0
    .symbol:         _ZL19rocblas_axpy_kernelIlLi256E19rocblas_complex_numIfEPKS1_PKS3_PKPS1_EviT2_lT3_lT_lT4_lSB_li.kd
    .uniform_work_group_size: 1
    .uses_dynamic_stack: false
    .vgpr_count:     16
    .vgpr_spill_count: 0
    .wavefront_size: 32
  - .args:
      - .offset:         0
        .size:           4
        .value_kind:     by_value
      - .offset:         4
        .size:           8
        .value_kind:     by_value
      - .offset:         16
        .size:           8
        .value_kind:     by_value
      - .actual_access:  read_only
        .address_space:  global
        .offset:         24
        .size:           8
        .value_kind:     global_buffer
      - .offset:         32
        .size:           8
        .value_kind:     by_value
      - .offset:         40
        .size:           8
        .value_kind:     by_value
      - .offset:         48
        .size:           8
        .value_kind:     by_value
      - .actual_access:  read_only
        .address_space:  global
        .offset:         56
        .size:           8
        .value_kind:     global_buffer
      - .offset:         64
        .size:           8
        .value_kind:     by_value
      - .offset:         72
        .size:           8
        .value_kind:     by_value
      - .offset:         80
        .size:           8
        .value_kind:     by_value
      - .offset:         88
        .size:           4
        .value_kind:     by_value
    .group_segment_fixed_size: 0
    .kernarg_segment_align: 8
    .kernarg_segment_size: 92
    .language:       OpenCL C
    .language_version:
      - 2
      - 0
    .max_flat_workgroup_size: 256
    .name:           _ZL19rocblas_axpy_kernelIlLi256E19rocblas_complex_numIfES1_PKPKS1_PKPS1_EviT2_lT3_lT_lT4_lSB_li
    .private_segment_fixed_size: 0
    .sgpr_count:     22
    .sgpr_spill_count: 0
    .symbol:         _ZL19rocblas_axpy_kernelIlLi256E19rocblas_complex_numIfES1_PKPKS1_PKPS1_EviT2_lT3_lT_lT4_lSB_li.kd
    .uniform_work_group_size: 1
    .uses_dynamic_stack: false
    .vgpr_count:     16
    .vgpr_spill_count: 0
    .wavefront_size: 32
  - .args:
      - .offset:         0
        .size:           4
        .value_kind:     by_value
      - .address_space:  global
        .offset:         8
        .size:           8
        .value_kind:     global_buffer
      - .offset:         16
        .size:           8
        .value_kind:     by_value
      - .address_space:  global
        .offset:         24
        .size:           8
        .value_kind:     global_buffer
      - .offset:         32
        .size:           8
        .value_kind:     by_value
      - .offset:         40
        .size:           8
        .value_kind:     by_value
      - .address_space:  global
        .offset:         48
        .size:           8
        .value_kind:     global_buffer
      - .offset:         56
        .size:           8
        .value_kind:     by_value
      - .offset:         64
        .size:           8
        .value_kind:     by_value
      - .offset:         72
        .size:           4
        .value_kind:     by_value
    .group_segment_fixed_size: 0
    .kernarg_segment_align: 8
    .kernarg_segment_size: 76
    .language:       OpenCL C
    .language_version:
      - 2
      - 0
    .max_flat_workgroup_size: 256
    .name:           _ZL26rocblas_haxpy_mlt_8_kernelILi256EPKDF16_PKPK19rocblas_complex_numIdEPKPS3_EviT0_lT1_llT2_lli
    .private_segment_fixed_size: 0
    .sgpr_count:     24
    .sgpr_spill_count: 0
    .symbol:         _ZL26rocblas_haxpy_mlt_8_kernelILi256EPKDF16_PKPK19rocblas_complex_numIdEPKPS3_EviT0_lT1_llT2_lli.kd
    .uniform_work_group_size: 1
    .uses_dynamic_stack: false
    .vgpr_count:     16
    .vgpr_spill_count: 0
    .wavefront_size: 32
  - .args:
      - .offset:         0
        .size:           4
        .value_kind:     by_value
      - .address_space:  global
        .offset:         8
        .size:           8
        .value_kind:     global_buffer
      - .offset:         16
        .size:           8
        .value_kind:     by_value
      - .address_space:  global
        .offset:         24
        .size:           8
        .value_kind:     global_buffer
      - .offset:         32
        .size:           8
        .value_kind:     by_value
      - .offset:         40
        .size:           8
        .value_kind:     by_value
      - .address_space:  global
        .offset:         48
        .size:           8
        .value_kind:     global_buffer
      - .offset:         56
        .size:           8
        .value_kind:     by_value
      - .offset:         64
        .size:           8
        .value_kind:     by_value
      - .offset:         72
        .size:           4
        .value_kind:     by_value
    .group_segment_fixed_size: 0
    .kernarg_segment_align: 8
    .kernarg_segment_size: 76
    .language:       OpenCL C
    .language_version:
      - 2
      - 0
    .max_flat_workgroup_size: 256
    .name:           _ZL26rocblas_haxpy_mod_8_kernelILi256EPK19rocblas_complex_numIdEPKS3_PKPS1_EviT0_lT1_llT2_lli
    .private_segment_fixed_size: 0
    .sgpr_count:     24
    .sgpr_spill_count: 0
    .symbol:         _ZL26rocblas_haxpy_mod_8_kernelILi256EPK19rocblas_complex_numIdEPKS3_PKPS1_EviT0_lT1_llT2_lli.kd
    .uniform_work_group_size: 1
    .uses_dynamic_stack: false
    .vgpr_count:     20
    .vgpr_spill_count: 0
    .wavefront_size: 32
  - .args:
      - .offset:         0
        .size:           4
        .value_kind:     by_value
      - .offset:         4
        .size:           2
        .value_kind:     by_value
      - .offset:         8
        .size:           8
        .value_kind:     by_value
      - .address_space:  global
        .offset:         16
        .size:           8
        .value_kind:     global_buffer
      - .offset:         24
        .size:           8
        .value_kind:     by_value
      - .offset:         32
        .size:           8
        .value_kind:     by_value
      - .address_space:  global
        .offset:         40
        .size:           8
        .value_kind:     global_buffer
      - .offset:         48
        .size:           8
        .value_kind:     by_value
      - .offset:         56
        .size:           8
        .value_kind:     by_value
      - .offset:         64
        .size:           4
        .value_kind:     by_value
    .group_segment_fixed_size: 0
    .kernarg_segment_align: 8
    .kernarg_segment_size: 68
    .language:       OpenCL C
    .language_version:
      - 2
      - 0
    .max_flat_workgroup_size: 256
    .name:           _ZL26rocblas_haxpy_mlt_8_kernelILi256EDF16_PKPK19rocblas_complex_numIdEPKPS1_EviT0_lT1_llT2_lli
    .private_segment_fixed_size: 0
    .sgpr_count:     20
    .sgpr_spill_count: 0
    .symbol:         _ZL26rocblas_haxpy_mlt_8_kernelILi256EDF16_PKPK19rocblas_complex_numIdEPKPS1_EviT0_lT1_llT2_lli.kd
    .uniform_work_group_size: 1
    .uses_dynamic_stack: false
    .vgpr_count:     14
    .vgpr_spill_count: 0
    .wavefront_size: 32
  - .args:
      - .offset:         0
        .size:           4
        .value_kind:     by_value
      - .offset:         8
        .size:           16
        .value_kind:     by_value
      - .offset:         24
        .size:           8
        .value_kind:     by_value
      - .address_space:  global
        .offset:         32
        .size:           8
        .value_kind:     global_buffer
      - .offset:         40
        .size:           8
        .value_kind:     by_value
      - .offset:         48
        .size:           8
        .value_kind:     by_value
      - .address_space:  global
        .offset:         56
        .size:           8
        .value_kind:     global_buffer
      - .offset:         64
        .size:           8
        .value_kind:     by_value
      - .offset:         72
        .size:           8
        .value_kind:     by_value
      - .offset:         80
        .size:           4
        .value_kind:     by_value
    .group_segment_fixed_size: 0
    .kernarg_segment_align: 8
    .kernarg_segment_size: 84
    .language:       OpenCL C
    .language_version:
      - 2
      - 0
    .max_flat_workgroup_size: 256
    .name:           _ZL26rocblas_haxpy_mod_8_kernelILi256E19rocblas_complex_numIdEPKPKS1_PKPS1_EviT0_lT1_llT2_lli
    .private_segment_fixed_size: 0
    .sgpr_count:     24
    .sgpr_spill_count: 0
    .symbol:         _ZL26rocblas_haxpy_mod_8_kernelILi256E19rocblas_complex_numIdEPKPKS1_PKPS1_EviT0_lT1_llT2_lli.kd
    .uniform_work_group_size: 1
    .uses_dynamic_stack: false
    .vgpr_count:     14
    .vgpr_spill_count: 0
    .wavefront_size: 32
  - .args:
      - .offset:         0
        .size:           4
        .value_kind:     by_value
      - .address_space:  global
        .offset:         8
        .size:           8
        .value_kind:     global_buffer
      - .offset:         16
        .size:           8
        .value_kind:     by_value
      - .actual_access:  read_only
        .address_space:  global
        .offset:         24
        .size:           8
        .value_kind:     global_buffer
      - .offset:         32
        .size:           8
        .value_kind:     by_value
      - .offset:         40
        .size:           8
        .value_kind:     by_value
      - .actual_access:  read_only
        .address_space:  global
        .offset:         48
        .size:           8
        .value_kind:     global_buffer
      - .offset:         56
        .size:           8
        .value_kind:     by_value
      - .offset:         64
        .size:           8
        .value_kind:     by_value
      - .offset:         72
        .size:           4
        .value_kind:     by_value
    .group_segment_fixed_size: 0
    .kernarg_segment_align: 8
    .kernarg_segment_size: 76
    .language:       OpenCL C
    .language_version:
      - 2
      - 0
    .max_flat_workgroup_size: 256
    .name:           _ZL22rocblas_saxpy_2_kernelILi256E19rocblas_complex_numIdEPKS1_PKS3_PKPS1_EviT1_lT2_llT3_lli
    .private_segment_fixed_size: 0
    .sgpr_count:     28
    .sgpr_spill_count: 0
    .symbol:         _ZL22rocblas_saxpy_2_kernelILi256E19rocblas_complex_numIdEPKS1_PKS3_PKPS1_EviT1_lT2_llT3_lli.kd
    .uniform_work_group_size: 1
    .uses_dynamic_stack: false
    .vgpr_count:     24
    .vgpr_spill_count: 0
    .wavefront_size: 32
  - .args:
      - .offset:         0
        .size:           4
        .value_kind:     by_value
      - .offset:         8
        .size:           16
        .value_kind:     by_value
      - .offset:         24
        .size:           8
        .value_kind:     by_value
      - .actual_access:  read_only
        .address_space:  global
        .offset:         32
        .size:           8
        .value_kind:     global_buffer
      - .offset:         40
        .size:           8
        .value_kind:     by_value
      - .offset:         48
        .size:           8
        .value_kind:     by_value
      - .actual_access:  read_only
        .address_space:  global
        .offset:         56
        .size:           8
        .value_kind:     global_buffer
      - .offset:         64
        .size:           8
        .value_kind:     by_value
      - .offset:         72
        .size:           8
        .value_kind:     by_value
      - .offset:         80
        .size:           4
        .value_kind:     by_value
    .group_segment_fixed_size: 0
    .kernarg_segment_align: 8
    .kernarg_segment_size: 84
    .language:       OpenCL C
    .language_version:
      - 2
      - 0
    .max_flat_workgroup_size: 256
    .name:           _ZL22rocblas_saxpy_2_kernelILi256E19rocblas_complex_numIdES1_PKPKS1_PKPS1_EviT1_lT2_llT3_lli
    .private_segment_fixed_size: 0
    .sgpr_count:     24
    .sgpr_spill_count: 0
    .symbol:         _ZL22rocblas_saxpy_2_kernelILi256E19rocblas_complex_numIdES1_PKPKS1_PKPS1_EviT1_lT2_llT3_lli.kd
    .uniform_work_group_size: 1
    .uses_dynamic_stack: false
    .vgpr_count:     18
    .vgpr_spill_count: 0
    .wavefront_size: 32
  - .args:
      - .offset:         0
        .size:           4
        .value_kind:     by_value
      - .address_space:  global
        .offset:         8
        .size:           8
        .value_kind:     global_buffer
      - .offset:         16
        .size:           8
        .value_kind:     by_value
      - .address_space:  global
        .offset:         24
        .size:           8
        .value_kind:     global_buffer
      - .offset:         32
        .size:           8
        .value_kind:     by_value
      - .offset:         40
        .size:           4
        .value_kind:     by_value
      - .offset:         48
        .size:           8
        .value_kind:     by_value
      - .address_space:  global
        .offset:         56
        .size:           8
        .value_kind:     global_buffer
      - .offset:         64
        .size:           8
        .value_kind:     by_value
      - .offset:         72
        .size:           4
        .value_kind:     by_value
      - .offset:         80
        .size:           8
        .value_kind:     by_value
      - .offset:         88
        .size:           4
        .value_kind:     by_value
      - .offset:         96
        .size:           4
        .value_kind:     hidden_block_count_x
      - .offset:         100
        .size:           4
        .value_kind:     hidden_block_count_y
      - .offset:         104
        .size:           4
        .value_kind:     hidden_block_count_z
      - .offset:         108
        .size:           2
        .value_kind:     hidden_group_size_x
      - .offset:         110
        .size:           2
        .value_kind:     hidden_group_size_y
      - .offset:         112
        .size:           2
        .value_kind:     hidden_group_size_z
      - .offset:         114
        .size:           2
        .value_kind:     hidden_remainder_x
      - .offset:         116
        .size:           2
        .value_kind:     hidden_remainder_y
      - .offset:         118
        .size:           2
        .value_kind:     hidden_remainder_z
      - .offset:         136
        .size:           8
        .value_kind:     hidden_global_offset_x
      - .offset:         144
        .size:           8
        .value_kind:     hidden_global_offset_y
      - .offset:         152
        .size:           8
        .value_kind:     hidden_global_offset_z
      - .offset:         160
        .size:           2
        .value_kind:     hidden_grid_dims
    .group_segment_fixed_size: 0
    .kernarg_segment_align: 8
    .kernarg_segment_size: 352
    .language:       OpenCL C
    .language_version:
      - 2
      - 0
    .max_flat_workgroup_size: 1024
    .name:           _ZL27rocblas_axpy_kernel_batchedIiLi128ELi8E19rocblas_complex_numIdEPKS1_PKS3_PKPS1_EviT3_lT4_lT_lT5_lSB_li
    .private_segment_fixed_size: 0
    .sgpr_count:     19
    .sgpr_spill_count: 0
    .symbol:         _ZL27rocblas_axpy_kernel_batchedIiLi128ELi8E19rocblas_complex_numIdEPKS1_PKS3_PKPS1_EviT3_lT4_lT_lT5_lSB_li.kd
    .uniform_work_group_size: 1
    .uses_dynamic_stack: false
    .vgpr_count:     22
    .vgpr_spill_count: 0
    .wavefront_size: 32
  - .args:
      - .offset:         0
        .size:           4
        .value_kind:     by_value
      - .offset:         8
        .size:           16
        .value_kind:     by_value
      - .offset:         24
        .size:           8
        .value_kind:     by_value
      - .address_space:  global
        .offset:         32
        .size:           8
        .value_kind:     global_buffer
      - .offset:         40
        .size:           8
        .value_kind:     by_value
      - .offset:         48
        .size:           4
        .value_kind:     by_value
      - .offset:         56
        .size:           8
        .value_kind:     by_value
      - .address_space:  global
        .offset:         64
        .size:           8
        .value_kind:     global_buffer
      - .offset:         72
        .size:           8
        .value_kind:     by_value
      - .offset:         80
        .size:           4
        .value_kind:     by_value
      - .offset:         88
        .size:           8
        .value_kind:     by_value
      - .offset:         96
        .size:           4
        .value_kind:     by_value
      - .offset:         104
        .size:           4
        .value_kind:     hidden_block_count_x
      - .offset:         108
        .size:           4
        .value_kind:     hidden_block_count_y
      - .offset:         112
        .size:           4
        .value_kind:     hidden_block_count_z
      - .offset:         116
        .size:           2
        .value_kind:     hidden_group_size_x
      - .offset:         118
        .size:           2
        .value_kind:     hidden_group_size_y
      - .offset:         120
        .size:           2
        .value_kind:     hidden_group_size_z
      - .offset:         122
        .size:           2
        .value_kind:     hidden_remainder_x
      - .offset:         124
        .size:           2
        .value_kind:     hidden_remainder_y
      - .offset:         126
        .size:           2
        .value_kind:     hidden_remainder_z
      - .offset:         144
        .size:           8
        .value_kind:     hidden_global_offset_x
      - .offset:         152
        .size:           8
        .value_kind:     hidden_global_offset_y
      - .offset:         160
        .size:           8
        .value_kind:     hidden_global_offset_z
      - .offset:         168
        .size:           2
        .value_kind:     hidden_grid_dims
    .group_segment_fixed_size: 0
    .kernarg_segment_align: 8
    .kernarg_segment_size: 360
    .language:       OpenCL C
    .language_version:
      - 2
      - 0
    .max_flat_workgroup_size: 1024
    .name:           _ZL27rocblas_axpy_kernel_batchedIiLi128ELi8E19rocblas_complex_numIdES1_PKPKS1_PKPS1_EviT3_lT4_lT_lT5_lSB_li
    .private_segment_fixed_size: 0
    .sgpr_count:     24
    .sgpr_spill_count: 0
    .symbol:         _ZL27rocblas_axpy_kernel_batchedIiLi128ELi8E19rocblas_complex_numIdES1_PKPKS1_PKPS1_EviT3_lT4_lT_lT5_lSB_li.kd
    .uniform_work_group_size: 1
    .uses_dynamic_stack: false
    .vgpr_count:     18
    .vgpr_spill_count: 0
    .wavefront_size: 32
  - .args:
      - .offset:         0
        .size:           4
        .value_kind:     by_value
      - .address_space:  global
        .offset:         8
        .size:           8
        .value_kind:     global_buffer
      - .offset:         16
        .size:           8
        .value_kind:     by_value
      - .actual_access:  read_only
        .address_space:  global
        .offset:         24
        .size:           8
        .value_kind:     global_buffer
      - .offset:         32
        .size:           8
        .value_kind:     by_value
      - .offset:         40
        .size:           4
        .value_kind:     by_value
      - .offset:         48
        .size:           8
        .value_kind:     by_value
      - .actual_access:  read_only
        .address_space:  global
        .offset:         56
        .size:           8
        .value_kind:     global_buffer
      - .offset:         64
        .size:           8
        .value_kind:     by_value
      - .offset:         72
        .size:           4
        .value_kind:     by_value
      - .offset:         80
        .size:           8
        .value_kind:     by_value
      - .offset:         88
        .size:           4
        .value_kind:     by_value
    .group_segment_fixed_size: 0
    .kernarg_segment_align: 8
    .kernarg_segment_size: 92
    .language:       OpenCL C
    .language_version:
      - 2
      - 0
    .max_flat_workgroup_size: 256
    .name:           _ZL19rocblas_axpy_kernelIiLi256E19rocblas_complex_numIdEPKS1_PKS3_PKPS1_EviT2_lT3_lT_lT4_lSB_li
    .private_segment_fixed_size: 0
    .sgpr_count:     24
    .sgpr_spill_count: 0
    .symbol:         _ZL19rocblas_axpy_kernelIiLi256E19rocblas_complex_numIdEPKS1_PKS3_PKPS1_EviT2_lT3_lT_lT4_lSB_li.kd
    .uniform_work_group_size: 1
    .uses_dynamic_stack: false
    .vgpr_count:     22
    .vgpr_spill_count: 0
    .wavefront_size: 32
  - .args:
      - .offset:         0
        .size:           4
        .value_kind:     by_value
      - .offset:         8
        .size:           16
        .value_kind:     by_value
      - .offset:         24
        .size:           8
        .value_kind:     by_value
      - .actual_access:  read_only
        .address_space:  global
        .offset:         32
        .size:           8
        .value_kind:     global_buffer
      - .offset:         40
        .size:           8
        .value_kind:     by_value
      - .offset:         48
        .size:           4
        .value_kind:     by_value
      - .offset:         56
        .size:           8
        .value_kind:     by_value
      - .actual_access:  read_only
        .address_space:  global
        .offset:         64
        .size:           8
        .value_kind:     global_buffer
      - .offset:         72
        .size:           8
        .value_kind:     by_value
      - .offset:         80
        .size:           4
        .value_kind:     by_value
      - .offset:         88
        .size:           8
        .value_kind:     by_value
      - .offset:         96
        .size:           4
        .value_kind:     by_value
    .group_segment_fixed_size: 0
    .kernarg_segment_align: 8
    .kernarg_segment_size: 100
    .language:       OpenCL C
    .language_version:
      - 2
      - 0
    .max_flat_workgroup_size: 256
    .name:           _ZL19rocblas_axpy_kernelIiLi256E19rocblas_complex_numIdES1_PKPKS1_PKPS1_EviT2_lT3_lT_lT4_lSB_li
    .private_segment_fixed_size: 0
    .sgpr_count:     23
    .sgpr_spill_count: 0
    .symbol:         _ZL19rocblas_axpy_kernelIiLi256E19rocblas_complex_numIdES1_PKPKS1_PKPS1_EviT2_lT3_lT_lT4_lSB_li.kd
    .uniform_work_group_size: 1
    .uses_dynamic_stack: false
    .vgpr_count:     16
    .vgpr_spill_count: 0
    .wavefront_size: 32
  - .args:
      - .offset:         0
        .size:           4
        .value_kind:     by_value
      - .address_space:  global
        .offset:         8
        .size:           8
        .value_kind:     global_buffer
      - .offset:         16
        .size:           8
        .value_kind:     by_value
      - .actual_access:  read_only
        .address_space:  global
        .offset:         24
        .size:           8
        .value_kind:     global_buffer
      - .offset:         32
        .size:           8
        .value_kind:     by_value
      - .offset:         40
        .size:           8
        .value_kind:     by_value
      - .offset:         48
        .size:           8
        .value_kind:     by_value
      - .actual_access:  read_only
        .address_space:  global
        .offset:         56
        .size:           8
        .value_kind:     global_buffer
      - .offset:         64
        .size:           8
        .value_kind:     by_value
      - .offset:         72
        .size:           8
        .value_kind:     by_value
      - .offset:         80
        .size:           8
        .value_kind:     by_value
      - .offset:         88
        .size:           4
        .value_kind:     by_value
    .group_segment_fixed_size: 0
    .kernarg_segment_align: 8
    .kernarg_segment_size: 92
    .language:       OpenCL C
    .language_version:
      - 2
      - 0
    .max_flat_workgroup_size: 256
    .name:           _ZL19rocblas_axpy_kernelIlLi256E19rocblas_complex_numIdEPKS1_PKS3_PKPS1_EviT2_lT3_lT_lT4_lSB_li
    .private_segment_fixed_size: 0
    .sgpr_count:     26
    .sgpr_spill_count: 0
    .symbol:         _ZL19rocblas_axpy_kernelIlLi256E19rocblas_complex_numIdEPKS1_PKS3_PKPS1_EviT2_lT3_lT_lT4_lSB_li.kd
    .uniform_work_group_size: 1
    .uses_dynamic_stack: false
    .vgpr_count:     22
    .vgpr_spill_count: 0
    .wavefront_size: 32
  - .args:
      - .offset:         0
        .size:           4
        .value_kind:     by_value
      - .offset:         8
        .size:           16
        .value_kind:     by_value
      - .offset:         24
        .size:           8
        .value_kind:     by_value
      - .actual_access:  read_only
        .address_space:  global
        .offset:         32
        .size:           8
        .value_kind:     global_buffer
      - .offset:         40
        .size:           8
        .value_kind:     by_value
      - .offset:         48
        .size:           8
        .value_kind:     by_value
      - .offset:         56
        .size:           8
        .value_kind:     by_value
      - .actual_access:  read_only
        .address_space:  global
        .offset:         64
        .size:           8
        .value_kind:     global_buffer
      - .offset:         72
        .size:           8
        .value_kind:     by_value
      - .offset:         80
        .size:           8
        .value_kind:     by_value
      - .offset:         88
        .size:           8
        .value_kind:     by_value
      - .offset:         96
        .size:           4
        .value_kind:     by_value
    .group_segment_fixed_size: 0
    .kernarg_segment_align: 8
    .kernarg_segment_size: 100
    .language:       OpenCL C
    .language_version:
      - 2
      - 0
    .max_flat_workgroup_size: 256
    .name:           _ZL19rocblas_axpy_kernelIlLi256E19rocblas_complex_numIdES1_PKPKS1_PKPS1_EviT2_lT3_lT_lT4_lSB_li
    .private_segment_fixed_size: 0
    .sgpr_count:     26
    .sgpr_spill_count: 0
    .symbol:         _ZL19rocblas_axpy_kernelIlLi256E19rocblas_complex_numIdES1_PKPKS1_PKPS1_EviT2_lT3_lT_lT4_lSB_li.kd
    .uniform_work_group_size: 1
    .uses_dynamic_stack: false
    .vgpr_count:     16
    .vgpr_spill_count: 0
    .wavefront_size: 32
  - .args:
      - .offset:         0
        .size:           4
        .value_kind:     by_value
      - .address_space:  global
        .offset:         8
        .size:           8
        .value_kind:     global_buffer
      - .offset:         16
        .size:           8
        .value_kind:     by_value
      - .address_space:  global
        .offset:         24
        .size:           8
        .value_kind:     global_buffer
      - .offset:         32
        .size:           8
        .value_kind:     by_value
      - .offset:         40
        .size:           8
        .value_kind:     by_value
      - .address_space:  global
        .offset:         48
        .size:           8
        .value_kind:     global_buffer
      - .offset:         56
        .size:           8
        .value_kind:     by_value
      - .offset:         64
        .size:           8
        .value_kind:     by_value
      - .offset:         72
        .size:           4
        .value_kind:     by_value
    .group_segment_fixed_size: 0
    .kernarg_segment_align: 8
    .kernarg_segment_size: 76
    .language:       OpenCL C
    .language_version:
      - 2
      - 0
    .max_flat_workgroup_size: 256
    .name:           _ZL26rocblas_haxpy_mlt_8_kernelILi256EPKDF16_PK16rocblas_bfloat16PS2_EviT0_lT1_llT2_lli
    .private_segment_fixed_size: 0
    .sgpr_count:     27
    .sgpr_spill_count: 0
    .symbol:         _ZL26rocblas_haxpy_mlt_8_kernelILi256EPKDF16_PK16rocblas_bfloat16PS2_EviT0_lT1_llT2_lli.kd
    .uniform_work_group_size: 1
    .uses_dynamic_stack: false
    .vgpr_count:     18
    .vgpr_spill_count: 0
    .wavefront_size: 32
  - .args:
      - .offset:         0
        .size:           4
        .value_kind:     by_value
      - .address_space:  global
        .offset:         8
        .size:           8
        .value_kind:     global_buffer
      - .offset:         16
        .size:           8
        .value_kind:     by_value
      - .address_space:  global
        .offset:         24
        .size:           8
        .value_kind:     global_buffer
      - .offset:         32
        .size:           8
        .value_kind:     by_value
      - .offset:         40
        .size:           8
        .value_kind:     by_value
      - .address_space:  global
        .offset:         48
        .size:           8
        .value_kind:     global_buffer
      - .offset:         56
        .size:           8
        .value_kind:     by_value
      - .offset:         64
        .size:           8
        .value_kind:     by_value
      - .offset:         72
        .size:           4
        .value_kind:     by_value
    .group_segment_fixed_size: 0
    .kernarg_segment_align: 8
    .kernarg_segment_size: 76
    .language:       OpenCL C
    .language_version:
      - 2
      - 0
    .max_flat_workgroup_size: 256
    .name:           _ZL26rocblas_haxpy_mod_8_kernelILi256EPK16rocblas_bfloat16S2_PS0_EviT0_lT1_llT2_lli
    .private_segment_fixed_size: 0
    .sgpr_count:     26
    .sgpr_spill_count: 0
    .symbol:         _ZL26rocblas_haxpy_mod_8_kernelILi256EPK16rocblas_bfloat16S2_PS0_EviT0_lT1_llT2_lli.kd
    .uniform_work_group_size: 1
    .uses_dynamic_stack: false
    .vgpr_count:     10
    .vgpr_spill_count: 0
    .wavefront_size: 32
  - .args:
      - .offset:         0
        .size:           4
        .value_kind:     by_value
      - .offset:         4
        .size:           2
        .value_kind:     by_value
      - .offset:         8
        .size:           8
        .value_kind:     by_value
      - .address_space:  global
        .offset:         16
        .size:           8
        .value_kind:     global_buffer
      - .offset:         24
        .size:           8
        .value_kind:     by_value
      - .offset:         32
        .size:           8
        .value_kind:     by_value
      - .address_space:  global
        .offset:         40
        .size:           8
        .value_kind:     global_buffer
      - .offset:         48
        .size:           8
        .value_kind:     by_value
      - .offset:         56
        .size:           8
        .value_kind:     by_value
      - .offset:         64
        .size:           4
        .value_kind:     by_value
    .group_segment_fixed_size: 0
    .kernarg_segment_align: 8
    .kernarg_segment_size: 68
    .language:       OpenCL C
    .language_version:
      - 2
      - 0
    .max_flat_workgroup_size: 256
    .name:           _ZL26rocblas_haxpy_mlt_8_kernelILi256EDF16_PK16rocblas_bfloat16PS0_EviT0_lT1_llT2_lli
    .private_segment_fixed_size: 0
    .sgpr_count:     22
    .sgpr_spill_count: 0
    .symbol:         _ZL26rocblas_haxpy_mlt_8_kernelILi256EDF16_PK16rocblas_bfloat16PS0_EviT0_lT1_llT2_lli.kd
    .uniform_work_group_size: 1
    .uses_dynamic_stack: false
    .vgpr_count:     16
    .vgpr_spill_count: 0
    .wavefront_size: 32
  - .args:
      - .offset:         0
        .size:           4
        .value_kind:     by_value
      - .offset:         4
        .size:           2
        .value_kind:     by_value
      - .offset:         8
        .size:           8
        .value_kind:     by_value
      - .address_space:  global
        .offset:         16
        .size:           8
        .value_kind:     global_buffer
      - .offset:         24
        .size:           8
        .value_kind:     by_value
      - .offset:         32
        .size:           8
        .value_kind:     by_value
      - .address_space:  global
        .offset:         40
        .size:           8
        .value_kind:     global_buffer
      - .offset:         48
        .size:           8
        .value_kind:     by_value
      - .offset:         56
        .size:           8
        .value_kind:     by_value
      - .offset:         64
        .size:           4
        .value_kind:     by_value
    .group_segment_fixed_size: 0
    .kernarg_segment_align: 8
    .kernarg_segment_size: 68
    .language:       OpenCL C
    .language_version:
      - 2
      - 0
    .max_flat_workgroup_size: 256
    .name:           _ZL26rocblas_haxpy_mod_8_kernelILi256E16rocblas_bfloat16PKS0_PS0_EviT0_lT1_llT2_lli
    .private_segment_fixed_size: 0
    .sgpr_count:     22
    .sgpr_spill_count: 0
    .symbol:         _ZL26rocblas_haxpy_mod_8_kernelILi256E16rocblas_bfloat16PKS0_PS0_EviT0_lT1_llT2_lli.kd
    .uniform_work_group_size: 1
    .uses_dynamic_stack: false
    .vgpr_count:     9
    .vgpr_spill_count: 0
    .wavefront_size: 32
  - .args:
      - .offset:         0
        .size:           4
        .value_kind:     by_value
      - .address_space:  global
        .offset:         8
        .size:           8
        .value_kind:     global_buffer
      - .offset:         16
        .size:           8
        .value_kind:     by_value
      - .actual_access:  read_only
        .address_space:  global
        .offset:         24
        .size:           8
        .value_kind:     global_buffer
      - .offset:         32
        .size:           8
        .value_kind:     by_value
      - .offset:         40
        .size:           8
        .value_kind:     by_value
      - .address_space:  global
        .offset:         48
        .size:           8
        .value_kind:     global_buffer
      - .offset:         56
        .size:           8
        .value_kind:     by_value
      - .offset:         64
        .size:           8
        .value_kind:     by_value
      - .offset:         72
        .size:           4
        .value_kind:     by_value
    .group_segment_fixed_size: 0
    .kernarg_segment_align: 8
    .kernarg_segment_size: 76
    .language:       OpenCL C
    .language_version:
      - 2
      - 0
    .max_flat_workgroup_size: 256
    .name:           _ZL22rocblas_saxpy_2_kernelILi256EfPK16rocblas_bfloat16S2_PS0_EviT1_lT2_llT3_lli
    .private_segment_fixed_size: 0
    .sgpr_count:     26
    .sgpr_spill_count: 0
    .symbol:         _ZL22rocblas_saxpy_2_kernelILi256EfPK16rocblas_bfloat16S2_PS0_EviT1_lT2_llT3_lli.kd
    .uniform_work_group_size: 1
    .uses_dynamic_stack: false
    .vgpr_count:     12
    .vgpr_spill_count: 0
    .wavefront_size: 32
  - .args:
      - .offset:         0
        .size:           4
        .value_kind:     by_value
      - .offset:         4
        .size:           2
        .value_kind:     by_value
      - .offset:         8
        .size:           8
        .value_kind:     by_value
      - .actual_access:  read_only
        .address_space:  global
        .offset:         16
        .size:           8
        .value_kind:     global_buffer
      - .offset:         24
        .size:           8
        .value_kind:     by_value
      - .offset:         32
        .size:           8
        .value_kind:     by_value
      - .address_space:  global
        .offset:         40
        .size:           8
        .value_kind:     global_buffer
      - .offset:         48
        .size:           8
        .value_kind:     by_value
      - .offset:         56
        .size:           8
        .value_kind:     by_value
      - .offset:         64
        .size:           4
        .value_kind:     by_value
    .group_segment_fixed_size: 0
    .kernarg_segment_align: 8
    .kernarg_segment_size: 68
    .language:       OpenCL C
    .language_version:
      - 2
      - 0
    .max_flat_workgroup_size: 256
    .name:           _ZL22rocblas_saxpy_2_kernelILi256Ef16rocblas_bfloat16PKS0_PS0_EviT1_lT2_llT3_lli
    .private_segment_fixed_size: 0
    .sgpr_count:     24
    .sgpr_spill_count: 0
    .symbol:         _ZL22rocblas_saxpy_2_kernelILi256Ef16rocblas_bfloat16PKS0_PS0_EviT1_lT2_llT3_lli.kd
    .uniform_work_group_size: 1
    .uses_dynamic_stack: false
    .vgpr_count:     10
    .vgpr_spill_count: 0
    .wavefront_size: 32
  - .args:
      - .offset:         0
        .size:           4
        .value_kind:     by_value
      - .address_space:  global
        .offset:         8
        .size:           8
        .value_kind:     global_buffer
      - .offset:         16
        .size:           8
        .value_kind:     by_value
      - .address_space:  global
        .offset:         24
        .size:           8
        .value_kind:     global_buffer
      - .offset:         32
        .size:           8
        .value_kind:     by_value
      - .offset:         40
        .size:           4
        .value_kind:     by_value
      - .offset:         48
        .size:           8
        .value_kind:     by_value
      - .address_space:  global
        .offset:         56
        .size:           8
        .value_kind:     global_buffer
      - .offset:         64
        .size:           8
        .value_kind:     by_value
      - .offset:         72
        .size:           4
        .value_kind:     by_value
      - .offset:         80
        .size:           8
        .value_kind:     by_value
      - .offset:         88
        .size:           4
        .value_kind:     by_value
      - .offset:         96
        .size:           4
        .value_kind:     hidden_block_count_x
      - .offset:         100
        .size:           4
        .value_kind:     hidden_block_count_y
      - .offset:         104
        .size:           4
        .value_kind:     hidden_block_count_z
      - .offset:         108
        .size:           2
        .value_kind:     hidden_group_size_x
      - .offset:         110
        .size:           2
        .value_kind:     hidden_group_size_y
      - .offset:         112
        .size:           2
        .value_kind:     hidden_group_size_z
      - .offset:         114
        .size:           2
        .value_kind:     hidden_remainder_x
      - .offset:         116
        .size:           2
        .value_kind:     hidden_remainder_y
      - .offset:         118
        .size:           2
        .value_kind:     hidden_remainder_z
      - .offset:         136
        .size:           8
        .value_kind:     hidden_global_offset_x
      - .offset:         144
        .size:           8
        .value_kind:     hidden_global_offset_y
      - .offset:         152
        .size:           8
        .value_kind:     hidden_global_offset_z
      - .offset:         160
        .size:           2
        .value_kind:     hidden_grid_dims
    .group_segment_fixed_size: 0
    .kernarg_segment_align: 8
    .kernarg_segment_size: 352
    .language:       OpenCL C
    .language_version:
      - 2
      - 0
    .max_flat_workgroup_size: 1024
    .name:           _ZL27rocblas_axpy_kernel_batchedIiLi128ELi8EfPK16rocblas_bfloat16S2_PS0_EviT3_lT4_lT_lT5_lS6_li
    .private_segment_fixed_size: 0
    .sgpr_count:     25
    .sgpr_spill_count: 0
    .symbol:         _ZL27rocblas_axpy_kernel_batchedIiLi128ELi8EfPK16rocblas_bfloat16S2_PS0_EviT3_lT4_lT_lT5_lS6_li.kd
    .uniform_work_group_size: 1
    .uses_dynamic_stack: false
    .vgpr_count:     13
    .vgpr_spill_count: 0
    .wavefront_size: 32
  - .args:
      - .offset:         0
        .size:           4
        .value_kind:     by_value
      - .offset:         4
        .size:           2
        .value_kind:     by_value
      - .offset:         8
        .size:           8
        .value_kind:     by_value
      - .address_space:  global
        .offset:         16
        .size:           8
        .value_kind:     global_buffer
      - .offset:         24
        .size:           8
        .value_kind:     by_value
      - .offset:         32
        .size:           4
        .value_kind:     by_value
      - .offset:         40
        .size:           8
        .value_kind:     by_value
      - .address_space:  global
        .offset:         48
        .size:           8
        .value_kind:     global_buffer
      - .offset:         56
        .size:           8
        .value_kind:     by_value
      - .offset:         64
        .size:           4
        .value_kind:     by_value
      - .offset:         72
        .size:           8
        .value_kind:     by_value
      - .offset:         80
        .size:           4
        .value_kind:     by_value
      - .offset:         88
        .size:           4
        .value_kind:     hidden_block_count_x
      - .offset:         92
        .size:           4
        .value_kind:     hidden_block_count_y
      - .offset:         96
        .size:           4
        .value_kind:     hidden_block_count_z
      - .offset:         100
        .size:           2
        .value_kind:     hidden_group_size_x
      - .offset:         102
        .size:           2
        .value_kind:     hidden_group_size_y
      - .offset:         104
        .size:           2
        .value_kind:     hidden_group_size_z
      - .offset:         106
        .size:           2
        .value_kind:     hidden_remainder_x
      - .offset:         108
        .size:           2
        .value_kind:     hidden_remainder_y
      - .offset:         110
        .size:           2
        .value_kind:     hidden_remainder_z
      - .offset:         128
        .size:           8
        .value_kind:     hidden_global_offset_x
      - .offset:         136
        .size:           8
        .value_kind:     hidden_global_offset_y
      - .offset:         144
        .size:           8
        .value_kind:     hidden_global_offset_z
      - .offset:         152
        .size:           2
        .value_kind:     hidden_grid_dims
    .group_segment_fixed_size: 0
    .kernarg_segment_align: 8
    .kernarg_segment_size: 344
    .language:       OpenCL C
    .language_version:
      - 2
      - 0
    .max_flat_workgroup_size: 1024
    .name:           _ZL27rocblas_axpy_kernel_batchedIiLi128ELi8Ef16rocblas_bfloat16PKS0_PS0_EviT3_lT4_lT_lT5_lS6_li
    .private_segment_fixed_size: 0
    .sgpr_count:     21
    .sgpr_spill_count: 0
    .symbol:         _ZL27rocblas_axpy_kernel_batchedIiLi128ELi8Ef16rocblas_bfloat16PKS0_PS0_EviT3_lT4_lT_lT5_lS6_li.kd
    .uniform_work_group_size: 1
    .uses_dynamic_stack: false
    .vgpr_count:     12
    .vgpr_spill_count: 0
    .wavefront_size: 32
  - .args:
      - .offset:         0
        .size:           4
        .value_kind:     by_value
      - .address_space:  global
        .offset:         8
        .size:           8
        .value_kind:     global_buffer
      - .offset:         16
        .size:           8
        .value_kind:     by_value
      - .actual_access:  read_only
        .address_space:  global
        .offset:         24
        .size:           8
        .value_kind:     global_buffer
      - .offset:         32
        .size:           8
        .value_kind:     by_value
      - .offset:         40
        .size:           4
        .value_kind:     by_value
      - .offset:         48
        .size:           8
        .value_kind:     by_value
      - .address_space:  global
        .offset:         56
        .size:           8
        .value_kind:     global_buffer
      - .offset:         64
        .size:           8
        .value_kind:     by_value
      - .offset:         72
        .size:           4
        .value_kind:     by_value
      - .offset:         80
        .size:           8
        .value_kind:     by_value
      - .offset:         88
        .size:           4
        .value_kind:     by_value
    .group_segment_fixed_size: 0
    .kernarg_segment_align: 8
    .kernarg_segment_size: 92
    .language:       OpenCL C
    .language_version:
      - 2
      - 0
    .max_flat_workgroup_size: 256
    .name:           _ZL19rocblas_axpy_kernelIiLi256EfPK16rocblas_bfloat16S2_PS0_EviT2_lT3_lT_lT4_lS6_li
    .private_segment_fixed_size: 0
    .sgpr_count:     28
    .sgpr_spill_count: 0
    .symbol:         _ZL19rocblas_axpy_kernelIiLi256EfPK16rocblas_bfloat16S2_PS0_EviT2_lT3_lT_lT4_lS6_li.kd
    .uniform_work_group_size: 1
    .uses_dynamic_stack: false
    .vgpr_count:     11
    .vgpr_spill_count: 0
    .wavefront_size: 32
  - .args:
      - .offset:         0
        .size:           4
        .value_kind:     by_value
      - .offset:         4
        .size:           2
        .value_kind:     by_value
      - .offset:         8
        .size:           8
        .value_kind:     by_value
      - .actual_access:  read_only
        .address_space:  global
        .offset:         16
        .size:           8
        .value_kind:     global_buffer
      - .offset:         24
        .size:           8
        .value_kind:     by_value
      - .offset:         32
        .size:           4
        .value_kind:     by_value
      - .offset:         40
        .size:           8
        .value_kind:     by_value
      - .address_space:  global
        .offset:         48
        .size:           8
        .value_kind:     global_buffer
      - .offset:         56
        .size:           8
        .value_kind:     by_value
      - .offset:         64
        .size:           4
        .value_kind:     by_value
      - .offset:         72
        .size:           8
        .value_kind:     by_value
      - .offset:         80
        .size:           4
        .value_kind:     by_value
    .group_segment_fixed_size: 0
    .kernarg_segment_align: 8
    .kernarg_segment_size: 84
    .language:       OpenCL C
    .language_version:
      - 2
      - 0
    .max_flat_workgroup_size: 256
    .name:           _ZL19rocblas_axpy_kernelIiLi256Ef16rocblas_bfloat16PKS0_PS0_EviT2_lT3_lT_lT4_lS6_li
    .private_segment_fixed_size: 0
    .sgpr_count:     24
    .sgpr_spill_count: 0
    .symbol:         _ZL19rocblas_axpy_kernelIiLi256Ef16rocblas_bfloat16PKS0_PS0_EviT2_lT3_lT_lT4_lS6_li.kd
    .uniform_work_group_size: 1
    .uses_dynamic_stack: false
    .vgpr_count:     10
    .vgpr_spill_count: 0
    .wavefront_size: 32
  - .args:
      - .offset:         0
        .size:           4
        .value_kind:     by_value
      - .address_space:  global
        .offset:         8
        .size:           8
        .value_kind:     global_buffer
      - .offset:         16
        .size:           8
        .value_kind:     by_value
      - .actual_access:  read_only
        .address_space:  global
        .offset:         24
        .size:           8
        .value_kind:     global_buffer
      - .offset:         32
        .size:           8
        .value_kind:     by_value
      - .offset:         40
        .size:           8
        .value_kind:     by_value
      - .offset:         48
        .size:           8
        .value_kind:     by_value
      - .address_space:  global
        .offset:         56
        .size:           8
        .value_kind:     global_buffer
      - .offset:         64
        .size:           8
        .value_kind:     by_value
      - .offset:         72
        .size:           8
        .value_kind:     by_value
      - .offset:         80
        .size:           8
        .value_kind:     by_value
      - .offset:         88
        .size:           4
        .value_kind:     by_value
    .group_segment_fixed_size: 0
    .kernarg_segment_align: 8
    .kernarg_segment_size: 92
    .language:       OpenCL C
    .language_version:
      - 2
      - 0
    .max_flat_workgroup_size: 256
    .name:           _ZL19rocblas_axpy_kernelIlLi256EfPK16rocblas_bfloat16S2_PS0_EviT2_lT3_lT_lT4_lS6_li
    .private_segment_fixed_size: 0
    .sgpr_count:     29
    .sgpr_spill_count: 0
    .symbol:         _ZL19rocblas_axpy_kernelIlLi256EfPK16rocblas_bfloat16S2_PS0_EviT2_lT3_lT_lT4_lS6_li.kd
    .uniform_work_group_size: 1
    .uses_dynamic_stack: false
    .vgpr_count:     11
    .vgpr_spill_count: 0
    .wavefront_size: 32
  - .args:
      - .offset:         0
        .size:           4
        .value_kind:     by_value
      - .offset:         4
        .size:           2
        .value_kind:     by_value
      - .offset:         8
        .size:           8
        .value_kind:     by_value
      - .actual_access:  read_only
        .address_space:  global
        .offset:         16
        .size:           8
        .value_kind:     global_buffer
      - .offset:         24
        .size:           8
        .value_kind:     by_value
      - .offset:         32
        .size:           8
        .value_kind:     by_value
      - .offset:         40
        .size:           8
        .value_kind:     by_value
      - .address_space:  global
        .offset:         48
        .size:           8
        .value_kind:     global_buffer
      - .offset:         56
        .size:           8
        .value_kind:     by_value
      - .offset:         64
        .size:           8
        .value_kind:     by_value
      - .offset:         72
        .size:           8
        .value_kind:     by_value
      - .offset:         80
        .size:           4
        .value_kind:     by_value
    .group_segment_fixed_size: 0
    .kernarg_segment_align: 8
    .kernarg_segment_size: 84
    .language:       OpenCL C
    .language_version:
      - 2
      - 0
    .max_flat_workgroup_size: 256
    .name:           _ZL19rocblas_axpy_kernelIlLi256Ef16rocblas_bfloat16PKS0_PS0_EviT2_lT3_lT_lT4_lS6_li
    .private_segment_fixed_size: 0
    .sgpr_count:     23
    .sgpr_spill_count: 0
    .symbol:         _ZL19rocblas_axpy_kernelIlLi256Ef16rocblas_bfloat16PKS0_PS0_EviT2_lT3_lT_lT4_lS6_li.kd
    .uniform_work_group_size: 1
    .uses_dynamic_stack: false
    .vgpr_count:     10
    .vgpr_spill_count: 0
    .wavefront_size: 32
  - .args:
      - .offset:         0
        .size:           4
        .value_kind:     by_value
      - .address_space:  global
        .offset:         8
        .size:           8
        .value_kind:     global_buffer
      - .offset:         16
        .size:           8
        .value_kind:     by_value
      - .address_space:  global
        .offset:         24
        .size:           8
        .value_kind:     global_buffer
      - .offset:         32
        .size:           8
        .value_kind:     by_value
      - .offset:         40
        .size:           8
        .value_kind:     by_value
      - .address_space:  global
        .offset:         48
        .size:           8
        .value_kind:     global_buffer
      - .offset:         56
        .size:           8
        .value_kind:     by_value
      - .offset:         64
        .size:           8
        .value_kind:     by_value
      - .offset:         72
        .size:           4
        .value_kind:     by_value
    .group_segment_fixed_size: 0
    .kernarg_segment_align: 8
    .kernarg_segment_size: 76
    .language:       OpenCL C
    .language_version:
      - 2
      - 0
    .max_flat_workgroup_size: 256
    .name:           _ZL26rocblas_haxpy_mod_8_kernelILi256EPKfPK16rocblas_bfloat16PS2_EviT0_lT1_llT2_lli
    .private_segment_fixed_size: 0
    .sgpr_count:     26
    .sgpr_spill_count: 0
    .symbol:         _ZL26rocblas_haxpy_mod_8_kernelILi256EPKfPK16rocblas_bfloat16PS2_EviT0_lT1_llT2_lli.kd
    .uniform_work_group_size: 1
    .uses_dynamic_stack: false
    .vgpr_count:     9
    .vgpr_spill_count: 0
    .wavefront_size: 32
  - .args:
      - .offset:         0
        .size:           4
        .value_kind:     by_value
      - .offset:         4
        .size:           4
        .value_kind:     by_value
      - .offset:         8
        .size:           8
        .value_kind:     by_value
      - .address_space:  global
        .offset:         16
        .size:           8
        .value_kind:     global_buffer
      - .offset:         24
        .size:           8
        .value_kind:     by_value
      - .offset:         32
        .size:           8
        .value_kind:     by_value
      - .address_space:  global
        .offset:         40
        .size:           8
        .value_kind:     global_buffer
      - .offset:         48
        .size:           8
        .value_kind:     by_value
      - .offset:         56
        .size:           8
        .value_kind:     by_value
      - .offset:         64
        .size:           4
        .value_kind:     by_value
    .group_segment_fixed_size: 0
    .kernarg_segment_align: 8
    .kernarg_segment_size: 68
    .language:       OpenCL C
    .language_version:
      - 2
      - 0
    .max_flat_workgroup_size: 256
    .name:           _ZL26rocblas_haxpy_mod_8_kernelILi256EfPK16rocblas_bfloat16PS0_EviT0_lT1_llT2_lli
    .private_segment_fixed_size: 0
    .sgpr_count:     22
    .sgpr_spill_count: 0
    .symbol:         _ZL26rocblas_haxpy_mod_8_kernelILi256EfPK16rocblas_bfloat16PS0_EviT0_lT1_llT2_lli.kd
    .uniform_work_group_size: 1
    .uses_dynamic_stack: false
    .vgpr_count:     9
    .vgpr_spill_count: 0
    .wavefront_size: 32
  - .args:
      - .offset:         0
        .size:           4
        .value_kind:     by_value
      - .address_space:  global
        .offset:         8
        .size:           8
        .value_kind:     global_buffer
      - .offset:         16
        .size:           8
        .value_kind:     by_value
      - .actual_access:  read_only
        .address_space:  global
        .offset:         24
        .size:           8
        .value_kind:     global_buffer
      - .offset:         32
        .size:           8
        .value_kind:     by_value
      - .offset:         40
        .size:           8
        .value_kind:     by_value
      - .address_space:  global
        .offset:         48
        .size:           8
        .value_kind:     global_buffer
      - .offset:         56
        .size:           8
        .value_kind:     by_value
      - .offset:         64
        .size:           8
        .value_kind:     by_value
      - .offset:         72
        .size:           4
        .value_kind:     by_value
    .group_segment_fixed_size: 0
    .kernarg_segment_align: 8
    .kernarg_segment_size: 76
    .language:       OpenCL C
    .language_version:
      - 2
      - 0
    .max_flat_workgroup_size: 256
    .name:           _ZL22rocblas_saxpy_2_kernelILi256EfPKfPK16rocblas_bfloat16PS2_EviT1_lT2_llT3_lli
    .private_segment_fixed_size: 0
    .sgpr_count:     27
    .sgpr_spill_count: 0
    .symbol:         _ZL22rocblas_saxpy_2_kernelILi256EfPKfPK16rocblas_bfloat16PS2_EviT1_lT2_llT3_lli.kd
    .uniform_work_group_size: 1
    .uses_dynamic_stack: false
    .vgpr_count:     10
    .vgpr_spill_count: 0
    .wavefront_size: 32
  - .args:
      - .offset:         0
        .size:           4
        .value_kind:     by_value
      - .offset:         4
        .size:           4
        .value_kind:     by_value
      - .offset:         8
        .size:           8
        .value_kind:     by_value
      - .actual_access:  read_only
        .address_space:  global
        .offset:         16
        .size:           8
        .value_kind:     global_buffer
      - .offset:         24
        .size:           8
        .value_kind:     by_value
      - .offset:         32
        .size:           8
        .value_kind:     by_value
      - .address_space:  global
        .offset:         40
        .size:           8
        .value_kind:     global_buffer
      - .offset:         48
        .size:           8
        .value_kind:     by_value
      - .offset:         56
        .size:           8
        .value_kind:     by_value
      - .offset:         64
        .size:           4
        .value_kind:     by_value
    .group_segment_fixed_size: 0
    .kernarg_segment_align: 8
    .kernarg_segment_size: 68
    .language:       OpenCL C
    .language_version:
      - 2
      - 0
    .max_flat_workgroup_size: 256
    .name:           _ZL22rocblas_saxpy_2_kernelILi256EffPK16rocblas_bfloat16PS0_EviT1_lT2_llT3_lli
    .private_segment_fixed_size: 0
    .sgpr_count:     24
    .sgpr_spill_count: 0
    .symbol:         _ZL22rocblas_saxpy_2_kernelILi256EffPK16rocblas_bfloat16PS0_EviT1_lT2_llT3_lli.kd
    .uniform_work_group_size: 1
    .uses_dynamic_stack: false
    .vgpr_count:     10
    .vgpr_spill_count: 0
    .wavefront_size: 32
  - .args:
      - .offset:         0
        .size:           4
        .value_kind:     by_value
      - .address_space:  global
        .offset:         8
        .size:           8
        .value_kind:     global_buffer
      - .offset:         16
        .size:           8
        .value_kind:     by_value
      - .address_space:  global
        .offset:         24
        .size:           8
        .value_kind:     global_buffer
      - .offset:         32
        .size:           8
        .value_kind:     by_value
      - .offset:         40
        .size:           4
        .value_kind:     by_value
      - .offset:         48
        .size:           8
        .value_kind:     by_value
      - .address_space:  global
        .offset:         56
        .size:           8
        .value_kind:     global_buffer
      - .offset:         64
        .size:           8
        .value_kind:     by_value
      - .offset:         72
        .size:           4
        .value_kind:     by_value
      - .offset:         80
        .size:           8
        .value_kind:     by_value
      - .offset:         88
        .size:           4
        .value_kind:     by_value
      - .offset:         96
        .size:           4
        .value_kind:     hidden_block_count_x
      - .offset:         100
        .size:           4
        .value_kind:     hidden_block_count_y
      - .offset:         104
        .size:           4
        .value_kind:     hidden_block_count_z
      - .offset:         108
        .size:           2
        .value_kind:     hidden_group_size_x
      - .offset:         110
        .size:           2
        .value_kind:     hidden_group_size_y
      - .offset:         112
        .size:           2
        .value_kind:     hidden_group_size_z
      - .offset:         114
        .size:           2
        .value_kind:     hidden_remainder_x
      - .offset:         116
        .size:           2
        .value_kind:     hidden_remainder_y
      - .offset:         118
        .size:           2
        .value_kind:     hidden_remainder_z
      - .offset:         136
        .size:           8
        .value_kind:     hidden_global_offset_x
      - .offset:         144
        .size:           8
        .value_kind:     hidden_global_offset_y
      - .offset:         152
        .size:           8
        .value_kind:     hidden_global_offset_z
      - .offset:         160
        .size:           2
        .value_kind:     hidden_grid_dims
    .group_segment_fixed_size: 0
    .kernarg_segment_align: 8
    .kernarg_segment_size: 352
    .language:       OpenCL C
    .language_version:
      - 2
      - 0
    .max_flat_workgroup_size: 1024
    .name:           _ZL27rocblas_axpy_kernel_batchedIiLi128ELi8EfPKfPK16rocblas_bfloat16PS2_EviT3_lT4_lT_lT5_lS8_li
    .private_segment_fixed_size: 0
    .sgpr_count:     25
    .sgpr_spill_count: 0
    .symbol:         _ZL27rocblas_axpy_kernel_batchedIiLi128ELi8EfPKfPK16rocblas_bfloat16PS2_EviT3_lT4_lT_lT5_lS8_li.kd
    .uniform_work_group_size: 1
    .uses_dynamic_stack: false
    .vgpr_count:     13
    .vgpr_spill_count: 0
    .wavefront_size: 32
  - .args:
      - .offset:         0
        .size:           4
        .value_kind:     by_value
      - .offset:         4
        .size:           4
        .value_kind:     by_value
      - .offset:         8
        .size:           8
        .value_kind:     by_value
      - .address_space:  global
        .offset:         16
        .size:           8
        .value_kind:     global_buffer
      - .offset:         24
        .size:           8
        .value_kind:     by_value
      - .offset:         32
        .size:           4
        .value_kind:     by_value
      - .offset:         40
        .size:           8
        .value_kind:     by_value
      - .address_space:  global
        .offset:         48
        .size:           8
        .value_kind:     global_buffer
      - .offset:         56
        .size:           8
        .value_kind:     by_value
      - .offset:         64
        .size:           4
        .value_kind:     by_value
      - .offset:         72
        .size:           8
        .value_kind:     by_value
      - .offset:         80
        .size:           4
        .value_kind:     by_value
      - .offset:         88
        .size:           4
        .value_kind:     hidden_block_count_x
      - .offset:         92
        .size:           4
        .value_kind:     hidden_block_count_y
      - .offset:         96
        .size:           4
        .value_kind:     hidden_block_count_z
      - .offset:         100
        .size:           2
        .value_kind:     hidden_group_size_x
      - .offset:         102
        .size:           2
        .value_kind:     hidden_group_size_y
      - .offset:         104
        .size:           2
        .value_kind:     hidden_group_size_z
      - .offset:         106
        .size:           2
        .value_kind:     hidden_remainder_x
      - .offset:         108
        .size:           2
        .value_kind:     hidden_remainder_y
      - .offset:         110
        .size:           2
        .value_kind:     hidden_remainder_z
      - .offset:         128
        .size:           8
        .value_kind:     hidden_global_offset_x
      - .offset:         136
        .size:           8
        .value_kind:     hidden_global_offset_y
      - .offset:         144
        .size:           8
        .value_kind:     hidden_global_offset_z
      - .offset:         152
        .size:           2
        .value_kind:     hidden_grid_dims
    .group_segment_fixed_size: 0
    .kernarg_segment_align: 8
    .kernarg_segment_size: 344
    .language:       OpenCL C
    .language_version:
      - 2
      - 0
    .max_flat_workgroup_size: 1024
    .name:           _ZL27rocblas_axpy_kernel_batchedIiLi128ELi8EffPK16rocblas_bfloat16PS0_EviT3_lT4_lT_lT5_lS6_li
    .private_segment_fixed_size: 0
    .sgpr_count:     21
    .sgpr_spill_count: 0
    .symbol:         _ZL27rocblas_axpy_kernel_batchedIiLi128ELi8EffPK16rocblas_bfloat16PS0_EviT3_lT4_lT_lT5_lS6_li.kd
    .uniform_work_group_size: 1
    .uses_dynamic_stack: false
    .vgpr_count:     12
    .vgpr_spill_count: 0
    .wavefront_size: 32
  - .args:
      - .offset:         0
        .size:           4
        .value_kind:     by_value
      - .address_space:  global
        .offset:         8
        .size:           8
        .value_kind:     global_buffer
      - .offset:         16
        .size:           8
        .value_kind:     by_value
      - .actual_access:  read_only
        .address_space:  global
        .offset:         24
        .size:           8
        .value_kind:     global_buffer
      - .offset:         32
        .size:           8
        .value_kind:     by_value
      - .offset:         40
        .size:           4
        .value_kind:     by_value
      - .offset:         48
        .size:           8
        .value_kind:     by_value
      - .address_space:  global
        .offset:         56
        .size:           8
        .value_kind:     global_buffer
      - .offset:         64
        .size:           8
        .value_kind:     by_value
      - .offset:         72
        .size:           4
        .value_kind:     by_value
      - .offset:         80
        .size:           8
        .value_kind:     by_value
      - .offset:         88
        .size:           4
        .value_kind:     by_value
    .group_segment_fixed_size: 0
    .kernarg_segment_align: 8
    .kernarg_segment_size: 92
    .language:       OpenCL C
    .language_version:
      - 2
      - 0
    .max_flat_workgroup_size: 256
    .name:           _ZL19rocblas_axpy_kernelIiLi256EfPKfPK16rocblas_bfloat16PS2_EviT2_lT3_lT_lT4_lS8_li
    .private_segment_fixed_size: 0
    .sgpr_count:     28
    .sgpr_spill_count: 0
    .symbol:         _ZL19rocblas_axpy_kernelIiLi256EfPKfPK16rocblas_bfloat16PS2_EviT2_lT3_lT_lT4_lS8_li.kd
    .uniform_work_group_size: 1
    .uses_dynamic_stack: false
    .vgpr_count:     10
    .vgpr_spill_count: 0
    .wavefront_size: 32
  - .args:
      - .offset:         0
        .size:           4
        .value_kind:     by_value
      - .offset:         4
        .size:           4
        .value_kind:     by_value
      - .offset:         8
        .size:           8
        .value_kind:     by_value
      - .actual_access:  read_only
        .address_space:  global
        .offset:         16
        .size:           8
        .value_kind:     global_buffer
      - .offset:         24
        .size:           8
        .value_kind:     by_value
      - .offset:         32
        .size:           4
        .value_kind:     by_value
      - .offset:         40
        .size:           8
        .value_kind:     by_value
      - .address_space:  global
        .offset:         48
        .size:           8
        .value_kind:     global_buffer
      - .offset:         56
        .size:           8
        .value_kind:     by_value
      - .offset:         64
        .size:           4
        .value_kind:     by_value
      - .offset:         72
        .size:           8
        .value_kind:     by_value
      - .offset:         80
        .size:           4
        .value_kind:     by_value
    .group_segment_fixed_size: 0
    .kernarg_segment_align: 8
    .kernarg_segment_size: 84
    .language:       OpenCL C
    .language_version:
      - 2
      - 0
    .max_flat_workgroup_size: 256
    .name:           _ZL19rocblas_axpy_kernelIiLi256EffPK16rocblas_bfloat16PS0_EviT2_lT3_lT_lT4_lS6_li
    .private_segment_fixed_size: 0
    .sgpr_count:     24
    .sgpr_spill_count: 0
    .symbol:         _ZL19rocblas_axpy_kernelIiLi256EffPK16rocblas_bfloat16PS0_EviT2_lT3_lT_lT4_lS6_li.kd
    .uniform_work_group_size: 1
    .uses_dynamic_stack: false
    .vgpr_count:     10
    .vgpr_spill_count: 0
    .wavefront_size: 32
  - .args:
      - .offset:         0
        .size:           4
        .value_kind:     by_value
      - .address_space:  global
        .offset:         8
        .size:           8
        .value_kind:     global_buffer
      - .offset:         16
        .size:           8
        .value_kind:     by_value
      - .actual_access:  read_only
        .address_space:  global
        .offset:         24
        .size:           8
        .value_kind:     global_buffer
      - .offset:         32
        .size:           8
        .value_kind:     by_value
      - .offset:         40
        .size:           8
        .value_kind:     by_value
      - .offset:         48
        .size:           8
        .value_kind:     by_value
      - .address_space:  global
        .offset:         56
        .size:           8
        .value_kind:     global_buffer
      - .offset:         64
        .size:           8
        .value_kind:     by_value
      - .offset:         72
        .size:           8
        .value_kind:     by_value
      - .offset:         80
        .size:           8
        .value_kind:     by_value
      - .offset:         88
        .size:           4
        .value_kind:     by_value
    .group_segment_fixed_size: 0
    .kernarg_segment_align: 8
    .kernarg_segment_size: 92
    .language:       OpenCL C
    .language_version:
      - 2
      - 0
    .max_flat_workgroup_size: 256
    .name:           _ZL19rocblas_axpy_kernelIlLi256EfPKfPK16rocblas_bfloat16PS2_EviT2_lT3_lT_lT4_lS8_li
    .private_segment_fixed_size: 0
    .sgpr_count:     29
    .sgpr_spill_count: 0
    .symbol:         _ZL19rocblas_axpy_kernelIlLi256EfPKfPK16rocblas_bfloat16PS2_EviT2_lT3_lT_lT4_lS8_li.kd
    .uniform_work_group_size: 1
    .uses_dynamic_stack: false
    .vgpr_count:     10
    .vgpr_spill_count: 0
    .wavefront_size: 32
  - .args:
      - .offset:         0
        .size:           4
        .value_kind:     by_value
      - .offset:         4
        .size:           4
        .value_kind:     by_value
      - .offset:         8
        .size:           8
        .value_kind:     by_value
      - .actual_access:  read_only
        .address_space:  global
        .offset:         16
        .size:           8
        .value_kind:     global_buffer
      - .offset:         24
        .size:           8
        .value_kind:     by_value
      - .offset:         32
        .size:           8
        .value_kind:     by_value
      - .offset:         40
        .size:           8
        .value_kind:     by_value
      - .address_space:  global
        .offset:         48
        .size:           8
        .value_kind:     global_buffer
      - .offset:         56
        .size:           8
        .value_kind:     by_value
      - .offset:         64
        .size:           8
        .value_kind:     by_value
      - .offset:         72
        .size:           8
        .value_kind:     by_value
      - .offset:         80
        .size:           4
        .value_kind:     by_value
    .group_segment_fixed_size: 0
    .kernarg_segment_align: 8
    .kernarg_segment_size: 84
    .language:       OpenCL C
    .language_version:
      - 2
      - 0
    .max_flat_workgroup_size: 256
    .name:           _ZL19rocblas_axpy_kernelIlLi256EffPK16rocblas_bfloat16PS0_EviT2_lT3_lT_lT4_lS6_li
    .private_segment_fixed_size: 0
    .sgpr_count:     23
    .sgpr_spill_count: 0
    .symbol:         _ZL19rocblas_axpy_kernelIlLi256EffPK16rocblas_bfloat16PS0_EviT2_lT3_lT_lT4_lS6_li.kd
    .uniform_work_group_size: 1
    .uses_dynamic_stack: false
    .vgpr_count:     10
    .vgpr_spill_count: 0
    .wavefront_size: 32
  - .args:
      - .offset:         0
        .size:           4
        .value_kind:     by_value
      - .address_space:  global
        .offset:         8
        .size:           8
        .value_kind:     global_buffer
      - .offset:         16
        .size:           8
        .value_kind:     by_value
      - .actual_access:  read_only
        .address_space:  global
        .offset:         24
        .size:           8
        .value_kind:     global_buffer
      - .offset:         32
        .size:           8
        .value_kind:     by_value
      - .offset:         40
        .size:           8
        .value_kind:     by_value
      - .address_space:  global
        .offset:         48
        .size:           8
        .value_kind:     global_buffer
      - .offset:         56
        .size:           8
        .value_kind:     by_value
      - .offset:         64
        .size:           8
        .value_kind:     by_value
      - .offset:         72
        .size:           4
        .value_kind:     by_value
    .group_segment_fixed_size: 0
    .kernarg_segment_align: 8
    .kernarg_segment_size: 76
    .language:       OpenCL C
    .language_version:
      - 2
      - 0
    .max_flat_workgroup_size: 256
    .name:           _ZL22rocblas_saxpy_2_kernelILi256EfPKDF16_S1_PDF16_EviT1_lT2_llT3_lli
    .private_segment_fixed_size: 0
    .sgpr_count:     26
    .sgpr_spill_count: 0
    .symbol:         _ZL22rocblas_saxpy_2_kernelILi256EfPKDF16_S1_PDF16_EviT1_lT2_llT3_lli.kd
    .uniform_work_group_size: 1
    .uses_dynamic_stack: false
    .vgpr_count:     15
    .vgpr_spill_count: 0
    .wavefront_size: 32
  - .args:
      - .offset:         0
        .size:           4
        .value_kind:     by_value
      - .offset:         4
        .size:           2
        .value_kind:     by_value
      - .offset:         8
        .size:           8
        .value_kind:     by_value
      - .actual_access:  read_only
        .address_space:  global
        .offset:         16
        .size:           8
        .value_kind:     global_buffer
      - .offset:         24
        .size:           8
        .value_kind:     by_value
      - .offset:         32
        .size:           8
        .value_kind:     by_value
      - .address_space:  global
        .offset:         40
        .size:           8
        .value_kind:     global_buffer
      - .offset:         48
        .size:           8
        .value_kind:     by_value
      - .offset:         56
        .size:           8
        .value_kind:     by_value
      - .offset:         64
        .size:           4
        .value_kind:     by_value
    .group_segment_fixed_size: 0
    .kernarg_segment_align: 8
    .kernarg_segment_size: 68
    .language:       OpenCL C
    .language_version:
      - 2
      - 0
    .max_flat_workgroup_size: 256
    .name:           _ZL22rocblas_saxpy_2_kernelILi256EfDF16_PKDF16_PDF16_EviT1_lT2_llT3_lli
    .private_segment_fixed_size: 0
    .sgpr_count:     28
    .sgpr_spill_count: 0
    .symbol:         _ZL22rocblas_saxpy_2_kernelILi256EfDF16_PKDF16_PDF16_EviT1_lT2_llT3_lli.kd
    .uniform_work_group_size: 1
    .uses_dynamic_stack: false
    .vgpr_count:     12
    .vgpr_spill_count: 0
    .wavefront_size: 32
  - .args:
      - .offset:         0
        .size:           4
        .value_kind:     by_value
      - .address_space:  global
        .offset:         8
        .size:           8
        .value_kind:     global_buffer
      - .offset:         16
        .size:           8
        .value_kind:     by_value
      - .address_space:  global
        .offset:         24
        .size:           8
        .value_kind:     global_buffer
      - .offset:         32
        .size:           8
        .value_kind:     by_value
      - .offset:         40
        .size:           4
        .value_kind:     by_value
      - .offset:         48
        .size:           8
        .value_kind:     by_value
      - .address_space:  global
        .offset:         56
        .size:           8
        .value_kind:     global_buffer
      - .offset:         64
        .size:           8
        .value_kind:     by_value
      - .offset:         72
        .size:           4
        .value_kind:     by_value
      - .offset:         80
        .size:           8
        .value_kind:     by_value
      - .offset:         88
        .size:           4
        .value_kind:     by_value
      - .offset:         96
        .size:           4
        .value_kind:     hidden_block_count_x
      - .offset:         100
        .size:           4
        .value_kind:     hidden_block_count_y
      - .offset:         104
        .size:           4
        .value_kind:     hidden_block_count_z
      - .offset:         108
        .size:           2
        .value_kind:     hidden_group_size_x
      - .offset:         110
        .size:           2
        .value_kind:     hidden_group_size_y
      - .offset:         112
        .size:           2
        .value_kind:     hidden_group_size_z
      - .offset:         114
        .size:           2
        .value_kind:     hidden_remainder_x
      - .offset:         116
        .size:           2
        .value_kind:     hidden_remainder_y
      - .offset:         118
        .size:           2
        .value_kind:     hidden_remainder_z
      - .offset:         136
        .size:           8
        .value_kind:     hidden_global_offset_x
      - .offset:         144
        .size:           8
        .value_kind:     hidden_global_offset_y
      - .offset:         152
        .size:           8
        .value_kind:     hidden_global_offset_z
      - .offset:         160
        .size:           2
        .value_kind:     hidden_grid_dims
    .group_segment_fixed_size: 0
    .kernarg_segment_align: 8
    .kernarg_segment_size: 352
    .language:       OpenCL C
    .language_version:
      - 2
      - 0
    .max_flat_workgroup_size: 1024
    .name:           _ZL27rocblas_axpy_kernel_batchedIiLi128ELi8EfPKDF16_S1_PDF16_EviT3_lT4_lT_lT5_lS5_li
    .private_segment_fixed_size: 0
    .sgpr_count:     25
    .sgpr_spill_count: 0
    .symbol:         _ZL27rocblas_axpy_kernel_batchedIiLi128ELi8EfPKDF16_S1_PDF16_EviT3_lT4_lT_lT5_lS5_li.kd
    .uniform_work_group_size: 1
    .uses_dynamic_stack: false
    .vgpr_count:     13
    .vgpr_spill_count: 0
    .wavefront_size: 32
  - .args:
      - .offset:         0
        .size:           4
        .value_kind:     by_value
      - .offset:         4
        .size:           2
        .value_kind:     by_value
      - .offset:         8
        .size:           8
        .value_kind:     by_value
      - .address_space:  global
        .offset:         16
        .size:           8
        .value_kind:     global_buffer
      - .offset:         24
        .size:           8
        .value_kind:     by_value
      - .offset:         32
        .size:           4
        .value_kind:     by_value
      - .offset:         40
        .size:           8
        .value_kind:     by_value
      - .address_space:  global
        .offset:         48
        .size:           8
        .value_kind:     global_buffer
      - .offset:         56
        .size:           8
        .value_kind:     by_value
      - .offset:         64
        .size:           4
        .value_kind:     by_value
      - .offset:         72
        .size:           8
        .value_kind:     by_value
      - .offset:         80
        .size:           4
        .value_kind:     by_value
      - .offset:         88
        .size:           4
        .value_kind:     hidden_block_count_x
      - .offset:         92
        .size:           4
        .value_kind:     hidden_block_count_y
      - .offset:         96
        .size:           4
        .value_kind:     hidden_block_count_z
      - .offset:         100
        .size:           2
        .value_kind:     hidden_group_size_x
      - .offset:         102
        .size:           2
        .value_kind:     hidden_group_size_y
      - .offset:         104
        .size:           2
        .value_kind:     hidden_group_size_z
      - .offset:         106
        .size:           2
        .value_kind:     hidden_remainder_x
      - .offset:         108
        .size:           2
        .value_kind:     hidden_remainder_y
      - .offset:         110
        .size:           2
        .value_kind:     hidden_remainder_z
      - .offset:         128
        .size:           8
        .value_kind:     hidden_global_offset_x
      - .offset:         136
        .size:           8
        .value_kind:     hidden_global_offset_y
      - .offset:         144
        .size:           8
        .value_kind:     hidden_global_offset_z
      - .offset:         152
        .size:           2
        .value_kind:     hidden_grid_dims
    .group_segment_fixed_size: 0
    .kernarg_segment_align: 8
    .kernarg_segment_size: 344
    .language:       OpenCL C
    .language_version:
      - 2
      - 0
    .max_flat_workgroup_size: 1024
    .name:           _ZL27rocblas_axpy_kernel_batchedIiLi128ELi8EfDF16_PKDF16_PDF16_EviT3_lT4_lT_lT5_lS5_li
    .private_segment_fixed_size: 0
    .sgpr_count:     21
    .sgpr_spill_count: 0
    .symbol:         _ZL27rocblas_axpy_kernel_batchedIiLi128ELi8EfDF16_PKDF16_PDF16_EviT3_lT4_lT_lT5_lS5_li.kd
    .uniform_work_group_size: 1
    .uses_dynamic_stack: false
    .vgpr_count:     12
    .vgpr_spill_count: 0
    .wavefront_size: 32
  - .args:
      - .offset:         0
        .size:           4
        .value_kind:     by_value
      - .address_space:  global
        .offset:         8
        .size:           8
        .value_kind:     global_buffer
      - .offset:         16
        .size:           8
        .value_kind:     by_value
      - .actual_access:  read_only
        .address_space:  global
        .offset:         24
        .size:           8
        .value_kind:     global_buffer
      - .offset:         32
        .size:           8
        .value_kind:     by_value
      - .offset:         40
        .size:           4
        .value_kind:     by_value
      - .offset:         48
        .size:           8
        .value_kind:     by_value
      - .address_space:  global
        .offset:         56
        .size:           8
        .value_kind:     global_buffer
      - .offset:         64
        .size:           8
        .value_kind:     by_value
      - .offset:         72
        .size:           4
        .value_kind:     by_value
      - .offset:         80
        .size:           8
        .value_kind:     by_value
      - .offset:         88
        .size:           4
        .value_kind:     by_value
    .group_segment_fixed_size: 0
    .kernarg_segment_align: 8
    .kernarg_segment_size: 92
    .language:       OpenCL C
    .language_version:
      - 2
      - 0
    .max_flat_workgroup_size: 256
    .name:           _ZL19rocblas_axpy_kernelIiLi256EfPKDF16_S1_PDF16_EviT2_lT3_lT_lT4_lS5_li
    .private_segment_fixed_size: 0
    .sgpr_count:     28
    .sgpr_spill_count: 0
    .symbol:         _ZL19rocblas_axpy_kernelIiLi256EfPKDF16_S1_PDF16_EviT2_lT3_lT_lT4_lS5_li.kd
    .uniform_work_group_size: 1
    .uses_dynamic_stack: false
    .vgpr_count:     12
    .vgpr_spill_count: 0
    .wavefront_size: 32
  - .args:
      - .offset:         0
        .size:           4
        .value_kind:     by_value
      - .offset:         4
        .size:           2
        .value_kind:     by_value
      - .offset:         8
        .size:           8
        .value_kind:     by_value
      - .actual_access:  read_only
        .address_space:  global
        .offset:         16
        .size:           8
        .value_kind:     global_buffer
      - .offset:         24
        .size:           8
        .value_kind:     by_value
      - .offset:         32
        .size:           4
        .value_kind:     by_value
      - .offset:         40
        .size:           8
        .value_kind:     by_value
      - .address_space:  global
        .offset:         48
        .size:           8
        .value_kind:     global_buffer
      - .offset:         56
        .size:           8
        .value_kind:     by_value
      - .offset:         64
        .size:           4
        .value_kind:     by_value
      - .offset:         72
        .size:           8
        .value_kind:     by_value
      - .offset:         80
        .size:           4
        .value_kind:     by_value
    .group_segment_fixed_size: 0
    .kernarg_segment_align: 8
    .kernarg_segment_size: 84
    .language:       OpenCL C
    .language_version:
      - 2
      - 0
    .max_flat_workgroup_size: 256
    .name:           _ZL19rocblas_axpy_kernelIiLi256EfDF16_PKDF16_PDF16_EviT2_lT3_lT_lT4_lS5_li
    .private_segment_fixed_size: 0
    .sgpr_count:     24
    .sgpr_spill_count: 0
    .symbol:         _ZL19rocblas_axpy_kernelIiLi256EfDF16_PKDF16_PDF16_EviT2_lT3_lT_lT4_lS5_li.kd
    .uniform_work_group_size: 1
    .uses_dynamic_stack: false
    .vgpr_count:     10
    .vgpr_spill_count: 0
    .wavefront_size: 32
  - .args:
      - .offset:         0
        .size:           4
        .value_kind:     by_value
      - .address_space:  global
        .offset:         8
        .size:           8
        .value_kind:     global_buffer
      - .offset:         16
        .size:           8
        .value_kind:     by_value
      - .actual_access:  read_only
        .address_space:  global
        .offset:         24
        .size:           8
        .value_kind:     global_buffer
      - .offset:         32
        .size:           8
        .value_kind:     by_value
      - .offset:         40
        .size:           8
        .value_kind:     by_value
      - .offset:         48
        .size:           8
        .value_kind:     by_value
      - .address_space:  global
        .offset:         56
        .size:           8
        .value_kind:     global_buffer
      - .offset:         64
        .size:           8
        .value_kind:     by_value
      - .offset:         72
        .size:           8
        .value_kind:     by_value
      - .offset:         80
        .size:           8
        .value_kind:     by_value
      - .offset:         88
        .size:           4
        .value_kind:     by_value
    .group_segment_fixed_size: 0
    .kernarg_segment_align: 8
    .kernarg_segment_size: 92
    .language:       OpenCL C
    .language_version:
      - 2
      - 0
    .max_flat_workgroup_size: 256
    .name:           _ZL19rocblas_axpy_kernelIlLi256EfPKDF16_S1_PDF16_EviT2_lT3_lT_lT4_lS5_li
    .private_segment_fixed_size: 0
    .sgpr_count:     29
    .sgpr_spill_count: 0
    .symbol:         _ZL19rocblas_axpy_kernelIlLi256EfPKDF16_S1_PDF16_EviT2_lT3_lT_lT4_lS5_li.kd
    .uniform_work_group_size: 1
    .uses_dynamic_stack: false
    .vgpr_count:     12
    .vgpr_spill_count: 0
    .wavefront_size: 32
  - .args:
      - .offset:         0
        .size:           4
        .value_kind:     by_value
      - .offset:         4
        .size:           2
        .value_kind:     by_value
      - .offset:         8
        .size:           8
        .value_kind:     by_value
      - .actual_access:  read_only
        .address_space:  global
        .offset:         16
        .size:           8
        .value_kind:     global_buffer
      - .offset:         24
        .size:           8
        .value_kind:     by_value
      - .offset:         32
        .size:           8
        .value_kind:     by_value
      - .offset:         40
        .size:           8
        .value_kind:     by_value
      - .address_space:  global
        .offset:         48
        .size:           8
        .value_kind:     global_buffer
      - .offset:         56
        .size:           8
        .value_kind:     by_value
      - .offset:         64
        .size:           8
        .value_kind:     by_value
      - .offset:         72
        .size:           8
        .value_kind:     by_value
      - .offset:         80
        .size:           4
        .value_kind:     by_value
    .group_segment_fixed_size: 0
    .kernarg_segment_align: 8
    .kernarg_segment_size: 84
    .language:       OpenCL C
    .language_version:
      - 2
      - 0
    .max_flat_workgroup_size: 256
    .name:           _ZL19rocblas_axpy_kernelIlLi256EfDF16_PKDF16_PDF16_EviT2_lT3_lT_lT4_lS5_li
    .private_segment_fixed_size: 0
    .sgpr_count:     23
    .sgpr_spill_count: 0
    .symbol:         _ZL19rocblas_axpy_kernelIlLi256EfDF16_PKDF16_PDF16_EviT2_lT3_lT_lT4_lS5_li.kd
    .uniform_work_group_size: 1
    .uses_dynamic_stack: false
    .vgpr_count:     10
    .vgpr_spill_count: 0
    .wavefront_size: 32
  - .args:
      - .offset:         0
        .size:           4
        .value_kind:     by_value
      - .address_space:  global
        .offset:         8
        .size:           8
        .value_kind:     global_buffer
      - .offset:         16
        .size:           8
        .value_kind:     by_value
      - .address_space:  global
        .offset:         24
        .size:           8
        .value_kind:     global_buffer
      - .offset:         32
        .size:           8
        .value_kind:     by_value
      - .offset:         40
        .size:           8
        .value_kind:     by_value
      - .address_space:  global
        .offset:         48
        .size:           8
        .value_kind:     global_buffer
      - .offset:         56
        .size:           8
        .value_kind:     by_value
      - .offset:         64
        .size:           8
        .value_kind:     by_value
      - .offset:         72
        .size:           4
        .value_kind:     by_value
    .group_segment_fixed_size: 0
    .kernarg_segment_align: 8
    .kernarg_segment_size: 76
    .language:       OpenCL C
    .language_version:
      - 2
      - 0
    .max_flat_workgroup_size: 256
    .name:           _ZL26rocblas_haxpy_mod_8_kernelILi256EPKfPKDF16_PDF16_EviT0_lT1_llT2_lli
    .private_segment_fixed_size: 0
    .sgpr_count:     26
    .sgpr_spill_count: 0
    .symbol:         _ZL26rocblas_haxpy_mod_8_kernelILi256EPKfPKDF16_PDF16_EviT0_lT1_llT2_lli.kd
    .uniform_work_group_size: 1
    .uses_dynamic_stack: false
    .vgpr_count:     10
    .vgpr_spill_count: 0
    .wavefront_size: 32
  - .args:
      - .offset:         0
        .size:           4
        .value_kind:     by_value
      - .offset:         4
        .size:           4
        .value_kind:     by_value
      - .offset:         8
        .size:           8
        .value_kind:     by_value
      - .address_space:  global
        .offset:         16
        .size:           8
        .value_kind:     global_buffer
      - .offset:         24
        .size:           8
        .value_kind:     by_value
      - .offset:         32
        .size:           8
        .value_kind:     by_value
      - .address_space:  global
        .offset:         40
        .size:           8
        .value_kind:     global_buffer
      - .offset:         48
        .size:           8
        .value_kind:     by_value
      - .offset:         56
        .size:           8
        .value_kind:     by_value
      - .offset:         64
        .size:           4
        .value_kind:     by_value
    .group_segment_fixed_size: 0
    .kernarg_segment_align: 8
    .kernarg_segment_size: 68
    .language:       OpenCL C
    .language_version:
      - 2
      - 0
    .max_flat_workgroup_size: 256
    .name:           _ZL26rocblas_haxpy_mod_8_kernelILi256EfPKDF16_PDF16_EviT0_lT1_llT2_lli
    .private_segment_fixed_size: 0
    .sgpr_count:     22
    .sgpr_spill_count: 0
    .symbol:         _ZL26rocblas_haxpy_mod_8_kernelILi256EfPKDF16_PDF16_EviT0_lT1_llT2_lli.kd
    .uniform_work_group_size: 1
    .uses_dynamic_stack: false
    .vgpr_count:     10
    .vgpr_spill_count: 0
    .wavefront_size: 32
  - .args:
      - .offset:         0
        .size:           4
        .value_kind:     by_value
      - .address_space:  global
        .offset:         8
        .size:           8
        .value_kind:     global_buffer
      - .offset:         16
        .size:           8
        .value_kind:     by_value
      - .actual_access:  read_only
        .address_space:  global
        .offset:         24
        .size:           8
        .value_kind:     global_buffer
      - .offset:         32
        .size:           8
        .value_kind:     by_value
      - .offset:         40
        .size:           8
        .value_kind:     by_value
      - .address_space:  global
        .offset:         48
        .size:           8
        .value_kind:     global_buffer
      - .offset:         56
        .size:           8
        .value_kind:     by_value
      - .offset:         64
        .size:           8
        .value_kind:     by_value
      - .offset:         72
        .size:           4
        .value_kind:     by_value
    .group_segment_fixed_size: 0
    .kernarg_segment_align: 8
    .kernarg_segment_size: 76
    .language:       OpenCL C
    .language_version:
      - 2
      - 0
    .max_flat_workgroup_size: 256
    .name:           _ZL22rocblas_saxpy_2_kernelILi256EfPKfPKDF16_PDF16_EviT1_lT2_llT3_lli
    .private_segment_fixed_size: 0
    .sgpr_count:     27
    .sgpr_spill_count: 0
    .symbol:         _ZL22rocblas_saxpy_2_kernelILi256EfPKfPKDF16_PDF16_EviT1_lT2_llT3_lli.kd
    .uniform_work_group_size: 1
    .uses_dynamic_stack: false
    .vgpr_count:     11
    .vgpr_spill_count: 0
    .wavefront_size: 32
  - .args:
      - .offset:         0
        .size:           4
        .value_kind:     by_value
      - .offset:         4
        .size:           4
        .value_kind:     by_value
      - .offset:         8
        .size:           8
        .value_kind:     by_value
      - .actual_access:  read_only
        .address_space:  global
        .offset:         16
        .size:           8
        .value_kind:     global_buffer
      - .offset:         24
        .size:           8
        .value_kind:     by_value
      - .offset:         32
        .size:           8
        .value_kind:     by_value
      - .address_space:  global
        .offset:         40
        .size:           8
        .value_kind:     global_buffer
      - .offset:         48
        .size:           8
        .value_kind:     by_value
      - .offset:         56
        .size:           8
        .value_kind:     by_value
      - .offset:         64
        .size:           4
        .value_kind:     by_value
    .group_segment_fixed_size: 0
    .kernarg_segment_align: 8
    .kernarg_segment_size: 68
    .language:       OpenCL C
    .language_version:
      - 2
      - 0
    .max_flat_workgroup_size: 256
    .name:           _ZL22rocblas_saxpy_2_kernelILi256EffPKDF16_PDF16_EviT1_lT2_llT3_lli
    .private_segment_fixed_size: 0
    .sgpr_count:     24
    .sgpr_spill_count: 0
    .symbol:         _ZL22rocblas_saxpy_2_kernelILi256EffPKDF16_PDF16_EviT1_lT2_llT3_lli.kd
    .uniform_work_group_size: 1
    .uses_dynamic_stack: false
    .vgpr_count:     12
    .vgpr_spill_count: 0
    .wavefront_size: 32
  - .args:
      - .offset:         0
        .size:           4
        .value_kind:     by_value
      - .address_space:  global
        .offset:         8
        .size:           8
        .value_kind:     global_buffer
      - .offset:         16
        .size:           8
        .value_kind:     by_value
      - .address_space:  global
        .offset:         24
        .size:           8
        .value_kind:     global_buffer
      - .offset:         32
        .size:           8
        .value_kind:     by_value
      - .offset:         40
        .size:           4
        .value_kind:     by_value
      - .offset:         48
        .size:           8
        .value_kind:     by_value
      - .address_space:  global
        .offset:         56
        .size:           8
        .value_kind:     global_buffer
      - .offset:         64
        .size:           8
        .value_kind:     by_value
      - .offset:         72
        .size:           4
        .value_kind:     by_value
      - .offset:         80
        .size:           8
        .value_kind:     by_value
      - .offset:         88
        .size:           4
        .value_kind:     by_value
      - .offset:         96
        .size:           4
        .value_kind:     hidden_block_count_x
      - .offset:         100
        .size:           4
        .value_kind:     hidden_block_count_y
      - .offset:         104
        .size:           4
        .value_kind:     hidden_block_count_z
      - .offset:         108
        .size:           2
        .value_kind:     hidden_group_size_x
      - .offset:         110
        .size:           2
        .value_kind:     hidden_group_size_y
      - .offset:         112
        .size:           2
        .value_kind:     hidden_group_size_z
      - .offset:         114
        .size:           2
        .value_kind:     hidden_remainder_x
      - .offset:         116
        .size:           2
        .value_kind:     hidden_remainder_y
      - .offset:         118
        .size:           2
        .value_kind:     hidden_remainder_z
      - .offset:         136
        .size:           8
        .value_kind:     hidden_global_offset_x
      - .offset:         144
        .size:           8
        .value_kind:     hidden_global_offset_y
      - .offset:         152
        .size:           8
        .value_kind:     hidden_global_offset_z
      - .offset:         160
        .size:           2
        .value_kind:     hidden_grid_dims
    .group_segment_fixed_size: 0
    .kernarg_segment_align: 8
    .kernarg_segment_size: 352
    .language:       OpenCL C
    .language_version:
      - 2
      - 0
    .max_flat_workgroup_size: 1024
    .name:           _ZL27rocblas_axpy_kernel_batchedIiLi128ELi8EfPKfPKDF16_PDF16_EviT3_lT4_lT_lT5_lS7_li
    .private_segment_fixed_size: 0
    .sgpr_count:     25
    .sgpr_spill_count: 0
    .symbol:         _ZL27rocblas_axpy_kernel_batchedIiLi128ELi8EfPKfPKDF16_PDF16_EviT3_lT4_lT_lT5_lS7_li.kd
    .uniform_work_group_size: 1
    .uses_dynamic_stack: false
    .vgpr_count:     13
    .vgpr_spill_count: 0
    .wavefront_size: 32
  - .args:
      - .offset:         0
        .size:           4
        .value_kind:     by_value
      - .offset:         4
        .size:           4
        .value_kind:     by_value
      - .offset:         8
        .size:           8
        .value_kind:     by_value
      - .address_space:  global
        .offset:         16
        .size:           8
        .value_kind:     global_buffer
      - .offset:         24
        .size:           8
        .value_kind:     by_value
      - .offset:         32
        .size:           4
        .value_kind:     by_value
      - .offset:         40
        .size:           8
        .value_kind:     by_value
      - .address_space:  global
        .offset:         48
        .size:           8
        .value_kind:     global_buffer
      - .offset:         56
        .size:           8
        .value_kind:     by_value
      - .offset:         64
        .size:           4
        .value_kind:     by_value
      - .offset:         72
        .size:           8
        .value_kind:     by_value
      - .offset:         80
        .size:           4
        .value_kind:     by_value
      - .offset:         88
        .size:           4
        .value_kind:     hidden_block_count_x
      - .offset:         92
        .size:           4
        .value_kind:     hidden_block_count_y
      - .offset:         96
        .size:           4
        .value_kind:     hidden_block_count_z
      - .offset:         100
        .size:           2
        .value_kind:     hidden_group_size_x
      - .offset:         102
        .size:           2
        .value_kind:     hidden_group_size_y
      - .offset:         104
        .size:           2
        .value_kind:     hidden_group_size_z
      - .offset:         106
        .size:           2
        .value_kind:     hidden_remainder_x
      - .offset:         108
        .size:           2
        .value_kind:     hidden_remainder_y
      - .offset:         110
        .size:           2
        .value_kind:     hidden_remainder_z
      - .offset:         128
        .size:           8
        .value_kind:     hidden_global_offset_x
      - .offset:         136
        .size:           8
        .value_kind:     hidden_global_offset_y
      - .offset:         144
        .size:           8
        .value_kind:     hidden_global_offset_z
      - .offset:         152
        .size:           2
        .value_kind:     hidden_grid_dims
    .group_segment_fixed_size: 0
    .kernarg_segment_align: 8
    .kernarg_segment_size: 344
    .language:       OpenCL C
    .language_version:
      - 2
      - 0
    .max_flat_workgroup_size: 1024
    .name:           _ZL27rocblas_axpy_kernel_batchedIiLi128ELi8EffPKDF16_PDF16_EviT3_lT4_lT_lT5_lS5_li
    .private_segment_fixed_size: 0
    .sgpr_count:     21
    .sgpr_spill_count: 0
    .symbol:         _ZL27rocblas_axpy_kernel_batchedIiLi128ELi8EffPKDF16_PDF16_EviT3_lT4_lT_lT5_lS5_li.kd
    .uniform_work_group_size: 1
    .uses_dynamic_stack: false
    .vgpr_count:     12
    .vgpr_spill_count: 0
    .wavefront_size: 32
  - .args:
      - .offset:         0
        .size:           4
        .value_kind:     by_value
      - .address_space:  global
        .offset:         8
        .size:           8
        .value_kind:     global_buffer
      - .offset:         16
        .size:           8
        .value_kind:     by_value
      - .actual_access:  read_only
        .address_space:  global
        .offset:         24
        .size:           8
        .value_kind:     global_buffer
      - .offset:         32
        .size:           8
        .value_kind:     by_value
      - .offset:         40
        .size:           4
        .value_kind:     by_value
      - .offset:         48
        .size:           8
        .value_kind:     by_value
      - .address_space:  global
        .offset:         56
        .size:           8
        .value_kind:     global_buffer
      - .offset:         64
        .size:           8
        .value_kind:     by_value
      - .offset:         72
        .size:           4
        .value_kind:     by_value
      - .offset:         80
        .size:           8
        .value_kind:     by_value
      - .offset:         88
        .size:           4
        .value_kind:     by_value
    .group_segment_fixed_size: 0
    .kernarg_segment_align: 8
    .kernarg_segment_size: 92
    .language:       OpenCL C
    .language_version:
      - 2
      - 0
    .max_flat_workgroup_size: 256
    .name:           _ZL19rocblas_axpy_kernelIiLi256EfPKfPKDF16_PDF16_EviT2_lT3_lT_lT4_lS7_li
    .private_segment_fixed_size: 0
    .sgpr_count:     28
    .sgpr_spill_count: 0
    .symbol:         _ZL19rocblas_axpy_kernelIiLi256EfPKfPKDF16_PDF16_EviT2_lT3_lT_lT4_lS7_li.kd
    .uniform_work_group_size: 1
    .uses_dynamic_stack: false
    .vgpr_count:     10
    .vgpr_spill_count: 0
    .wavefront_size: 32
  - .args:
      - .offset:         0
        .size:           4
        .value_kind:     by_value
      - .offset:         4
        .size:           4
        .value_kind:     by_value
      - .offset:         8
        .size:           8
        .value_kind:     by_value
      - .actual_access:  read_only
        .address_space:  global
        .offset:         16
        .size:           8
        .value_kind:     global_buffer
      - .offset:         24
        .size:           8
        .value_kind:     by_value
      - .offset:         32
        .size:           4
        .value_kind:     by_value
      - .offset:         40
        .size:           8
        .value_kind:     by_value
      - .address_space:  global
        .offset:         48
        .size:           8
        .value_kind:     global_buffer
      - .offset:         56
        .size:           8
        .value_kind:     by_value
      - .offset:         64
        .size:           4
        .value_kind:     by_value
      - .offset:         72
        .size:           8
        .value_kind:     by_value
      - .offset:         80
        .size:           4
        .value_kind:     by_value
    .group_segment_fixed_size: 0
    .kernarg_segment_align: 8
    .kernarg_segment_size: 84
    .language:       OpenCL C
    .language_version:
      - 2
      - 0
    .max_flat_workgroup_size: 256
    .name:           _ZL19rocblas_axpy_kernelIiLi256EffPKDF16_PDF16_EviT2_lT3_lT_lT4_lS5_li
    .private_segment_fixed_size: 0
    .sgpr_count:     24
    .sgpr_spill_count: 0
    .symbol:         _ZL19rocblas_axpy_kernelIiLi256EffPKDF16_PDF16_EviT2_lT3_lT_lT4_lS5_li.kd
    .uniform_work_group_size: 1
    .uses_dynamic_stack: false
    .vgpr_count:     10
    .vgpr_spill_count: 0
    .wavefront_size: 32
  - .args:
      - .offset:         0
        .size:           4
        .value_kind:     by_value
      - .address_space:  global
        .offset:         8
        .size:           8
        .value_kind:     global_buffer
      - .offset:         16
        .size:           8
        .value_kind:     by_value
      - .actual_access:  read_only
        .address_space:  global
        .offset:         24
        .size:           8
        .value_kind:     global_buffer
      - .offset:         32
        .size:           8
        .value_kind:     by_value
      - .offset:         40
        .size:           8
        .value_kind:     by_value
      - .offset:         48
        .size:           8
        .value_kind:     by_value
      - .address_space:  global
        .offset:         56
        .size:           8
        .value_kind:     global_buffer
      - .offset:         64
        .size:           8
        .value_kind:     by_value
      - .offset:         72
        .size:           8
        .value_kind:     by_value
      - .offset:         80
        .size:           8
        .value_kind:     by_value
      - .offset:         88
        .size:           4
        .value_kind:     by_value
    .group_segment_fixed_size: 0
    .kernarg_segment_align: 8
    .kernarg_segment_size: 92
    .language:       OpenCL C
    .language_version:
      - 2
      - 0
    .max_flat_workgroup_size: 256
    .name:           _ZL19rocblas_axpy_kernelIlLi256EfPKfPKDF16_PDF16_EviT2_lT3_lT_lT4_lS7_li
    .private_segment_fixed_size: 0
    .sgpr_count:     29
    .sgpr_spill_count: 0
    .symbol:         _ZL19rocblas_axpy_kernelIlLi256EfPKfPKDF16_PDF16_EviT2_lT3_lT_lT4_lS7_li.kd
    .uniform_work_group_size: 1
    .uses_dynamic_stack: false
    .vgpr_count:     10
    .vgpr_spill_count: 0
    .wavefront_size: 32
  - .args:
      - .offset:         0
        .size:           4
        .value_kind:     by_value
      - .offset:         4
        .size:           4
        .value_kind:     by_value
      - .offset:         8
        .size:           8
        .value_kind:     by_value
      - .actual_access:  read_only
        .address_space:  global
        .offset:         16
        .size:           8
        .value_kind:     global_buffer
      - .offset:         24
        .size:           8
        .value_kind:     by_value
      - .offset:         32
        .size:           8
        .value_kind:     by_value
      - .offset:         40
        .size:           8
        .value_kind:     by_value
      - .address_space:  global
        .offset:         48
        .size:           8
        .value_kind:     global_buffer
      - .offset:         56
        .size:           8
        .value_kind:     by_value
      - .offset:         64
        .size:           8
        .value_kind:     by_value
      - .offset:         72
        .size:           8
        .value_kind:     by_value
      - .offset:         80
        .size:           4
        .value_kind:     by_value
    .group_segment_fixed_size: 0
    .kernarg_segment_align: 8
    .kernarg_segment_size: 84
    .language:       OpenCL C
    .language_version:
      - 2
      - 0
    .max_flat_workgroup_size: 256
    .name:           _ZL19rocblas_axpy_kernelIlLi256EffPKDF16_PDF16_EviT2_lT3_lT_lT4_lS5_li
    .private_segment_fixed_size: 0
    .sgpr_count:     23
    .sgpr_spill_count: 0
    .symbol:         _ZL19rocblas_axpy_kernelIlLi256EffPKDF16_PDF16_EviT2_lT3_lT_lT4_lS5_li.kd
    .uniform_work_group_size: 1
    .uses_dynamic_stack: false
    .vgpr_count:     10
    .vgpr_spill_count: 0
    .wavefront_size: 32
  - .args:
      - .offset:         0
        .size:           4
        .value_kind:     by_value
      - .address_space:  global
        .offset:         8
        .size:           8
        .value_kind:     global_buffer
      - .offset:         16
        .size:           8
        .value_kind:     by_value
      - .address_space:  global
        .offset:         24
        .size:           8
        .value_kind:     global_buffer
      - .offset:         32
        .size:           8
        .value_kind:     by_value
      - .offset:         40
        .size:           8
        .value_kind:     by_value
      - .address_space:  global
        .offset:         48
        .size:           8
        .value_kind:     global_buffer
      - .offset:         56
        .size:           8
        .value_kind:     by_value
      - .offset:         64
        .size:           8
        .value_kind:     by_value
      - .offset:         72
        .size:           4
        .value_kind:     by_value
    .group_segment_fixed_size: 0
    .kernarg_segment_align: 8
    .kernarg_segment_size: 76
    .language:       OpenCL C
    .language_version:
      - 2
      - 0
    .max_flat_workgroup_size: 256
    .name:           _ZL26rocblas_haxpy_mlt_8_kernelILi256EPKDF16_PKPK16rocblas_bfloat16PKPS2_EviT0_lT1_llT2_lli
    .private_segment_fixed_size: 0
    .sgpr_count:     24
    .sgpr_spill_count: 0
    .symbol:         _ZL26rocblas_haxpy_mlt_8_kernelILi256EPKDF16_PKPK16rocblas_bfloat16PKPS2_EviT0_lT1_llT2_lli.kd
    .uniform_work_group_size: 1
    .uses_dynamic_stack: false
    .vgpr_count:     16
    .vgpr_spill_count: 0
    .wavefront_size: 32
  - .args:
      - .offset:         0
        .size:           4
        .value_kind:     by_value
      - .address_space:  global
        .offset:         8
        .size:           8
        .value_kind:     global_buffer
      - .offset:         16
        .size:           8
        .value_kind:     by_value
      - .address_space:  global
        .offset:         24
        .size:           8
        .value_kind:     global_buffer
      - .offset:         32
        .size:           8
        .value_kind:     by_value
      - .offset:         40
        .size:           8
        .value_kind:     by_value
      - .address_space:  global
        .offset:         48
        .size:           8
        .value_kind:     global_buffer
      - .offset:         56
        .size:           8
        .value_kind:     by_value
      - .offset:         64
        .size:           8
        .value_kind:     by_value
      - .offset:         72
        .size:           4
        .value_kind:     by_value
    .group_segment_fixed_size: 0
    .kernarg_segment_align: 8
    .kernarg_segment_size: 76
    .language:       OpenCL C
    .language_version:
      - 2
      - 0
    .max_flat_workgroup_size: 256
    .name:           _ZL26rocblas_haxpy_mod_8_kernelILi256EPK16rocblas_bfloat16PKS2_PKPS0_EviT0_lT1_llT2_lli
    .private_segment_fixed_size: 0
    .sgpr_count:     24
    .sgpr_spill_count: 0
    .symbol:         _ZL26rocblas_haxpy_mod_8_kernelILi256EPK16rocblas_bfloat16PKS2_PKPS0_EviT0_lT1_llT2_lli.kd
    .uniform_work_group_size: 1
    .uses_dynamic_stack: false
    .vgpr_count:     7
    .vgpr_spill_count: 0
    .wavefront_size: 32
  - .args:
      - .offset:         0
        .size:           4
        .value_kind:     by_value
      - .offset:         4
        .size:           2
        .value_kind:     by_value
      - .offset:         8
        .size:           8
        .value_kind:     by_value
      - .address_space:  global
        .offset:         16
        .size:           8
        .value_kind:     global_buffer
      - .offset:         24
        .size:           8
        .value_kind:     by_value
      - .offset:         32
        .size:           8
        .value_kind:     by_value
      - .address_space:  global
        .offset:         40
        .size:           8
        .value_kind:     global_buffer
      - .offset:         48
        .size:           8
        .value_kind:     by_value
      - .offset:         56
        .size:           8
        .value_kind:     by_value
      - .offset:         64
        .size:           4
        .value_kind:     by_value
    .group_segment_fixed_size: 0
    .kernarg_segment_align: 8
    .kernarg_segment_size: 68
    .language:       OpenCL C
    .language_version:
      - 2
      - 0
    .max_flat_workgroup_size: 256
    .name:           _ZL26rocblas_haxpy_mlt_8_kernelILi256EDF16_PKPK16rocblas_bfloat16PKPS0_EviT0_lT1_llT2_lli
    .private_segment_fixed_size: 0
    .sgpr_count:     20
    .sgpr_spill_count: 0
    .symbol:         _ZL26rocblas_haxpy_mlt_8_kernelILi256EDF16_PKPK16rocblas_bfloat16PKPS0_EviT0_lT1_llT2_lli.kd
    .uniform_work_group_size: 1
    .uses_dynamic_stack: false
    .vgpr_count:     14
    .vgpr_spill_count: 0
    .wavefront_size: 32
  - .args:
      - .offset:         0
        .size:           4
        .value_kind:     by_value
      - .offset:         4
        .size:           2
        .value_kind:     by_value
      - .offset:         8
        .size:           8
        .value_kind:     by_value
      - .address_space:  global
        .offset:         16
        .size:           8
        .value_kind:     global_buffer
      - .offset:         24
        .size:           8
        .value_kind:     by_value
      - .offset:         32
        .size:           8
        .value_kind:     by_value
      - .address_space:  global
        .offset:         40
        .size:           8
        .value_kind:     global_buffer
      - .offset:         48
        .size:           8
        .value_kind:     by_value
      - .offset:         56
        .size:           8
        .value_kind:     by_value
      - .offset:         64
        .size:           4
        .value_kind:     by_value
    .group_segment_fixed_size: 0
    .kernarg_segment_align: 8
    .kernarg_segment_size: 68
    .language:       OpenCL C
    .language_version:
      - 2
      - 0
    .max_flat_workgroup_size: 256
    .name:           _ZL26rocblas_haxpy_mod_8_kernelILi256E16rocblas_bfloat16PKPKS0_PKPS0_EviT0_lT1_llT2_lli
    .private_segment_fixed_size: 0
    .sgpr_count:     19
    .sgpr_spill_count: 0
    .symbol:         _ZL26rocblas_haxpy_mod_8_kernelILi256E16rocblas_bfloat16PKPKS0_PKPS0_EviT0_lT1_llT2_lli.kd
    .uniform_work_group_size: 1
    .uses_dynamic_stack: false
    .vgpr_count:     7
    .vgpr_spill_count: 0
    .wavefront_size: 32
  - .args:
      - .offset:         0
        .size:           4
        .value_kind:     by_value
      - .address_space:  global
        .offset:         8
        .size:           8
        .value_kind:     global_buffer
      - .offset:         16
        .size:           8
        .value_kind:     by_value
      - .actual_access:  read_only
        .address_space:  global
        .offset:         24
        .size:           8
        .value_kind:     global_buffer
      - .offset:         32
        .size:           8
        .value_kind:     by_value
      - .offset:         40
        .size:           8
        .value_kind:     by_value
      - .actual_access:  read_only
        .address_space:  global
        .offset:         48
        .size:           8
        .value_kind:     global_buffer
      - .offset:         56
        .size:           8
        .value_kind:     by_value
      - .offset:         64
        .size:           8
        .value_kind:     by_value
      - .offset:         72
        .size:           4
        .value_kind:     by_value
    .group_segment_fixed_size: 0
    .kernarg_segment_align: 8
    .kernarg_segment_size: 76
    .language:       OpenCL C
    .language_version:
      - 2
      - 0
    .max_flat_workgroup_size: 256
    .name:           _ZL22rocblas_saxpy_2_kernelILi256EfPK16rocblas_bfloat16PKS2_PKPS0_EviT1_lT2_llT3_lli
    .private_segment_fixed_size: 0
    .sgpr_count:     28
    .sgpr_spill_count: 0
    .symbol:         _ZL22rocblas_saxpy_2_kernelILi256EfPK16rocblas_bfloat16PKS2_PKPS0_EviT1_lT2_llT3_lli.kd
    .uniform_work_group_size: 1
    .uses_dynamic_stack: false
    .vgpr_count:     12
    .vgpr_spill_count: 0
    .wavefront_size: 32
  - .args:
      - .offset:         0
        .size:           4
        .value_kind:     by_value
      - .offset:         4
        .size:           2
        .value_kind:     by_value
      - .offset:         8
        .size:           8
        .value_kind:     by_value
      - .actual_access:  read_only
        .address_space:  global
        .offset:         16
        .size:           8
        .value_kind:     global_buffer
      - .offset:         24
        .size:           8
        .value_kind:     by_value
      - .offset:         32
        .size:           8
        .value_kind:     by_value
      - .actual_access:  read_only
        .address_space:  global
        .offset:         40
        .size:           8
        .value_kind:     global_buffer
      - .offset:         48
        .size:           8
        .value_kind:     by_value
      - .offset:         56
        .size:           8
        .value_kind:     by_value
      - .offset:         64
        .size:           4
        .value_kind:     by_value
    .group_segment_fixed_size: 0
    .kernarg_segment_align: 8
    .kernarg_segment_size: 68
    .language:       OpenCL C
    .language_version:
      - 2
      - 0
    .max_flat_workgroup_size: 256
    .name:           _ZL22rocblas_saxpy_2_kernelILi256Ef16rocblas_bfloat16PKPKS0_PKPS0_EviT1_lT2_llT3_lli
    .private_segment_fixed_size: 0
    .sgpr_count:     20
    .sgpr_spill_count: 0
    .symbol:         _ZL22rocblas_saxpy_2_kernelILi256Ef16rocblas_bfloat16PKPKS0_PKPS0_EviT1_lT2_llT3_lli.kd
    .uniform_work_group_size: 1
    .uses_dynamic_stack: false
    .vgpr_count:     10
    .vgpr_spill_count: 0
    .wavefront_size: 32
  - .args:
      - .offset:         0
        .size:           4
        .value_kind:     by_value
      - .address_space:  global
        .offset:         8
        .size:           8
        .value_kind:     global_buffer
      - .offset:         16
        .size:           8
        .value_kind:     by_value
      - .address_space:  global
        .offset:         24
        .size:           8
        .value_kind:     global_buffer
      - .offset:         32
        .size:           8
        .value_kind:     by_value
      - .offset:         40
        .size:           4
        .value_kind:     by_value
      - .offset:         48
        .size:           8
        .value_kind:     by_value
      - .address_space:  global
        .offset:         56
        .size:           8
        .value_kind:     global_buffer
      - .offset:         64
        .size:           8
        .value_kind:     by_value
      - .offset:         72
        .size:           4
        .value_kind:     by_value
      - .offset:         80
        .size:           8
        .value_kind:     by_value
      - .offset:         88
        .size:           4
        .value_kind:     by_value
      - .offset:         96
        .size:           4
        .value_kind:     hidden_block_count_x
      - .offset:         100
        .size:           4
        .value_kind:     hidden_block_count_y
      - .offset:         104
        .size:           4
        .value_kind:     hidden_block_count_z
      - .offset:         108
        .size:           2
        .value_kind:     hidden_group_size_x
      - .offset:         110
        .size:           2
        .value_kind:     hidden_group_size_y
      - .offset:         112
        .size:           2
        .value_kind:     hidden_group_size_z
      - .offset:         114
        .size:           2
        .value_kind:     hidden_remainder_x
      - .offset:         116
        .size:           2
        .value_kind:     hidden_remainder_y
      - .offset:         118
        .size:           2
        .value_kind:     hidden_remainder_z
      - .offset:         136
        .size:           8
        .value_kind:     hidden_global_offset_x
      - .offset:         144
        .size:           8
        .value_kind:     hidden_global_offset_y
      - .offset:         152
        .size:           8
        .value_kind:     hidden_global_offset_z
      - .offset:         160
        .size:           2
        .value_kind:     hidden_grid_dims
    .group_segment_fixed_size: 0
    .kernarg_segment_align: 8
    .kernarg_segment_size: 352
    .language:       OpenCL C
    .language_version:
      - 2
      - 0
    .max_flat_workgroup_size: 1024
    .name:           _ZL27rocblas_axpy_kernel_batchedIiLi128ELi8EfPK16rocblas_bfloat16PKS2_PKPS0_EviT3_lT4_lT_lT5_lSA_li
    .private_segment_fixed_size: 0
    .sgpr_count:     19
    .sgpr_spill_count: 0
    .symbol:         _ZL27rocblas_axpy_kernel_batchedIiLi128ELi8EfPK16rocblas_bfloat16PKS2_PKPS0_EviT3_lT4_lT_lT5_lSA_li.kd
    .uniform_work_group_size: 1
    .uses_dynamic_stack: false
    .vgpr_count:     12
    .vgpr_spill_count: 0
    .wavefront_size: 32
  - .args:
      - .offset:         0
        .size:           4
        .value_kind:     by_value
      - .offset:         4
        .size:           2
        .value_kind:     by_value
      - .offset:         8
        .size:           8
        .value_kind:     by_value
      - .address_space:  global
        .offset:         16
        .size:           8
        .value_kind:     global_buffer
      - .offset:         24
        .size:           8
        .value_kind:     by_value
      - .offset:         32
        .size:           4
        .value_kind:     by_value
      - .offset:         40
        .size:           8
        .value_kind:     by_value
      - .address_space:  global
        .offset:         48
        .size:           8
        .value_kind:     global_buffer
      - .offset:         56
        .size:           8
        .value_kind:     by_value
      - .offset:         64
        .size:           4
        .value_kind:     by_value
      - .offset:         72
        .size:           8
        .value_kind:     by_value
      - .offset:         80
        .size:           4
        .value_kind:     by_value
      - .offset:         88
        .size:           4
        .value_kind:     hidden_block_count_x
      - .offset:         92
        .size:           4
        .value_kind:     hidden_block_count_y
      - .offset:         96
        .size:           4
        .value_kind:     hidden_block_count_z
      - .offset:         100
        .size:           2
        .value_kind:     hidden_group_size_x
      - .offset:         102
        .size:           2
        .value_kind:     hidden_group_size_y
      - .offset:         104
        .size:           2
        .value_kind:     hidden_group_size_z
      - .offset:         106
        .size:           2
        .value_kind:     hidden_remainder_x
      - .offset:         108
        .size:           2
        .value_kind:     hidden_remainder_y
      - .offset:         110
        .size:           2
        .value_kind:     hidden_remainder_z
      - .offset:         128
        .size:           8
        .value_kind:     hidden_global_offset_x
      - .offset:         136
        .size:           8
        .value_kind:     hidden_global_offset_y
      - .offset:         144
        .size:           8
        .value_kind:     hidden_global_offset_z
      - .offset:         152
        .size:           2
        .value_kind:     hidden_grid_dims
    .group_segment_fixed_size: 0
    .kernarg_segment_align: 8
    .kernarg_segment_size: 344
    .language:       OpenCL C
    .language_version:
      - 2
      - 0
    .max_flat_workgroup_size: 1024
    .name:           _ZL27rocblas_axpy_kernel_batchedIiLi128ELi8Ef16rocblas_bfloat16PKPKS0_PKPS0_EviT3_lT4_lT_lT5_lSA_li
    .private_segment_fixed_size: 0
    .sgpr_count:     17
    .sgpr_spill_count: 0
    .symbol:         _ZL27rocblas_axpy_kernel_batchedIiLi128ELi8Ef16rocblas_bfloat16PKPKS0_PKPS0_EviT3_lT4_lT_lT5_lSA_li.kd
    .uniform_work_group_size: 1
    .uses_dynamic_stack: false
    .vgpr_count:     11
    .vgpr_spill_count: 0
    .wavefront_size: 32
  - .args:
      - .offset:         0
        .size:           4
        .value_kind:     by_value
      - .address_space:  global
        .offset:         8
        .size:           8
        .value_kind:     global_buffer
      - .offset:         16
        .size:           8
        .value_kind:     by_value
      - .actual_access:  read_only
        .address_space:  global
        .offset:         24
        .size:           8
        .value_kind:     global_buffer
      - .offset:         32
        .size:           8
        .value_kind:     by_value
      - .offset:         40
        .size:           4
        .value_kind:     by_value
      - .offset:         48
        .size:           8
        .value_kind:     by_value
      - .actual_access:  read_only
        .address_space:  global
        .offset:         56
        .size:           8
        .value_kind:     global_buffer
      - .offset:         64
        .size:           8
        .value_kind:     by_value
      - .offset:         72
        .size:           4
        .value_kind:     by_value
      - .offset:         80
        .size:           8
        .value_kind:     by_value
      - .offset:         88
        .size:           4
        .value_kind:     by_value
    .group_segment_fixed_size: 0
    .kernarg_segment_align: 8
    .kernarg_segment_size: 92
    .language:       OpenCL C
    .language_version:
      - 2
      - 0
    .max_flat_workgroup_size: 256
    .name:           _ZL19rocblas_axpy_kernelIiLi256EfPK16rocblas_bfloat16PKS2_PKPS0_EviT2_lT3_lT_lT4_lSA_li
    .private_segment_fixed_size: 0
    .sgpr_count:     24
    .sgpr_spill_count: 0
    .symbol:         _ZL19rocblas_axpy_kernelIiLi256EfPK16rocblas_bfloat16PKS2_PKPS0_EviT2_lT3_lT_lT4_lSA_li.kd
    .uniform_work_group_size: 1
    .uses_dynamic_stack: false
    .vgpr_count:     11
    .vgpr_spill_count: 0
    .wavefront_size: 32
  - .args:
      - .offset:         0
        .size:           4
        .value_kind:     by_value
      - .offset:         4
        .size:           2
        .value_kind:     by_value
      - .offset:         8
        .size:           8
        .value_kind:     by_value
      - .actual_access:  read_only
        .address_space:  global
        .offset:         16
        .size:           8
        .value_kind:     global_buffer
      - .offset:         24
        .size:           8
        .value_kind:     by_value
      - .offset:         32
        .size:           4
        .value_kind:     by_value
      - .offset:         40
        .size:           8
        .value_kind:     by_value
      - .actual_access:  read_only
        .address_space:  global
        .offset:         48
        .size:           8
        .value_kind:     global_buffer
      - .offset:         56
        .size:           8
        .value_kind:     by_value
      - .offset:         64
        .size:           4
        .value_kind:     by_value
      - .offset:         72
        .size:           8
        .value_kind:     by_value
      - .offset:         80
        .size:           4
        .value_kind:     by_value
    .group_segment_fixed_size: 0
    .kernarg_segment_align: 8
    .kernarg_segment_size: 84
    .language:       OpenCL C
    .language_version:
      - 2
      - 0
    .max_flat_workgroup_size: 256
    .name:           _ZL19rocblas_axpy_kernelIiLi256Ef16rocblas_bfloat16PKPKS0_PKPS0_EviT2_lT3_lT_lT4_lSA_li
    .private_segment_fixed_size: 0
    .sgpr_count:     20
    .sgpr_spill_count: 0
    .symbol:         _ZL19rocblas_axpy_kernelIiLi256Ef16rocblas_bfloat16PKPKS0_PKPS0_EviT2_lT3_lT_lT4_lSA_li.kd
    .uniform_work_group_size: 1
    .uses_dynamic_stack: false
    .vgpr_count:     10
    .vgpr_spill_count: 0
    .wavefront_size: 32
  - .args:
      - .offset:         0
        .size:           4
        .value_kind:     by_value
      - .address_space:  global
        .offset:         8
        .size:           8
        .value_kind:     global_buffer
      - .offset:         16
        .size:           8
        .value_kind:     by_value
      - .actual_access:  read_only
        .address_space:  global
        .offset:         24
        .size:           8
        .value_kind:     global_buffer
      - .offset:         32
        .size:           8
        .value_kind:     by_value
      - .offset:         40
        .size:           8
        .value_kind:     by_value
      - .offset:         48
        .size:           8
        .value_kind:     by_value
      - .actual_access:  read_only
        .address_space:  global
        .offset:         56
        .size:           8
        .value_kind:     global_buffer
      - .offset:         64
        .size:           8
        .value_kind:     by_value
      - .offset:         72
        .size:           8
        .value_kind:     by_value
      - .offset:         80
        .size:           8
        .value_kind:     by_value
      - .offset:         88
        .size:           4
        .value_kind:     by_value
    .group_segment_fixed_size: 0
    .kernarg_segment_align: 8
    .kernarg_segment_size: 92
    .language:       OpenCL C
    .language_version:
      - 2
      - 0
    .max_flat_workgroup_size: 256
    .name:           _ZL19rocblas_axpy_kernelIlLi256EfPK16rocblas_bfloat16PKS2_PKPS0_EviT2_lT3_lT_lT4_lSA_li
    .private_segment_fixed_size: 0
    .sgpr_count:     26
    .sgpr_spill_count: 0
    .symbol:         _ZL19rocblas_axpy_kernelIlLi256EfPK16rocblas_bfloat16PKS2_PKPS0_EviT2_lT3_lT_lT4_lSA_li.kd
    .uniform_work_group_size: 1
    .uses_dynamic_stack: false
    .vgpr_count:     11
    .vgpr_spill_count: 0
    .wavefront_size: 32
  - .args:
      - .offset:         0
        .size:           4
        .value_kind:     by_value
      - .offset:         4
        .size:           2
        .value_kind:     by_value
      - .offset:         8
        .size:           8
        .value_kind:     by_value
      - .actual_access:  read_only
        .address_space:  global
        .offset:         16
        .size:           8
        .value_kind:     global_buffer
      - .offset:         24
        .size:           8
        .value_kind:     by_value
      - .offset:         32
        .size:           8
        .value_kind:     by_value
      - .offset:         40
        .size:           8
        .value_kind:     by_value
      - .actual_access:  read_only
        .address_space:  global
        .offset:         48
        .size:           8
        .value_kind:     global_buffer
      - .offset:         56
        .size:           8
        .value_kind:     by_value
      - .offset:         64
        .size:           8
        .value_kind:     by_value
      - .offset:         72
        .size:           8
        .value_kind:     by_value
      - .offset:         80
        .size:           4
        .value_kind:     by_value
    .group_segment_fixed_size: 0
    .kernarg_segment_align: 8
    .kernarg_segment_size: 84
    .language:       OpenCL C
    .language_version:
      - 2
      - 0
    .max_flat_workgroup_size: 256
    .name:           _ZL19rocblas_axpy_kernelIlLi256Ef16rocblas_bfloat16PKPKS0_PKPS0_EviT2_lT3_lT_lT4_lSA_li
    .private_segment_fixed_size: 0
    .sgpr_count:     22
    .sgpr_spill_count: 0
    .symbol:         _ZL19rocblas_axpy_kernelIlLi256Ef16rocblas_bfloat16PKPKS0_PKPS0_EviT2_lT3_lT_lT4_lSA_li.kd
    .uniform_work_group_size: 1
    .uses_dynamic_stack: false
    .vgpr_count:     10
    .vgpr_spill_count: 0
    .wavefront_size: 32
  - .args:
      - .offset:         0
        .size:           4
        .value_kind:     by_value
      - .address_space:  global
        .offset:         8
        .size:           8
        .value_kind:     global_buffer
      - .offset:         16
        .size:           8
        .value_kind:     by_value
      - .address_space:  global
        .offset:         24
        .size:           8
        .value_kind:     global_buffer
      - .offset:         32
        .size:           8
        .value_kind:     by_value
      - .offset:         40
        .size:           8
        .value_kind:     by_value
      - .address_space:  global
        .offset:         48
        .size:           8
        .value_kind:     global_buffer
      - .offset:         56
        .size:           8
        .value_kind:     by_value
      - .offset:         64
        .size:           8
        .value_kind:     by_value
      - .offset:         72
        .size:           4
        .value_kind:     by_value
    .group_segment_fixed_size: 0
    .kernarg_segment_align: 8
    .kernarg_segment_size: 76
    .language:       OpenCL C
    .language_version:
      - 2
      - 0
    .max_flat_workgroup_size: 256
    .name:           _ZL26rocblas_haxpy_mod_8_kernelILi256EPKfPKPK16rocblas_bfloat16PKPS2_EviT0_lT1_llT2_lli
    .private_segment_fixed_size: 0
    .sgpr_count:     24
    .sgpr_spill_count: 0
    .symbol:         _ZL26rocblas_haxpy_mod_8_kernelILi256EPKfPKPK16rocblas_bfloat16PKPS2_EviT0_lT1_llT2_lli.kd
    .uniform_work_group_size: 1
    .uses_dynamic_stack: false
    .vgpr_count:     7
    .vgpr_spill_count: 0
    .wavefront_size: 32
  - .args:
      - .offset:         0
        .size:           4
        .value_kind:     by_value
      - .offset:         4
        .size:           4
        .value_kind:     by_value
      - .offset:         8
        .size:           8
        .value_kind:     by_value
      - .address_space:  global
        .offset:         16
        .size:           8
        .value_kind:     global_buffer
      - .offset:         24
        .size:           8
        .value_kind:     by_value
      - .offset:         32
        .size:           8
        .value_kind:     by_value
      - .address_space:  global
        .offset:         40
        .size:           8
        .value_kind:     global_buffer
      - .offset:         48
        .size:           8
        .value_kind:     by_value
      - .offset:         56
        .size:           8
        .value_kind:     by_value
      - .offset:         64
        .size:           4
        .value_kind:     by_value
    .group_segment_fixed_size: 0
    .kernarg_segment_align: 8
    .kernarg_segment_size: 68
    .language:       OpenCL C
    .language_version:
      - 2
      - 0
    .max_flat_workgroup_size: 256
    .name:           _ZL26rocblas_haxpy_mod_8_kernelILi256EfPKPK16rocblas_bfloat16PKPS0_EviT0_lT1_llT2_lli
    .private_segment_fixed_size: 0
    .sgpr_count:     19
    .sgpr_spill_count: 0
    .symbol:         _ZL26rocblas_haxpy_mod_8_kernelILi256EfPKPK16rocblas_bfloat16PKPS0_EviT0_lT1_llT2_lli.kd
    .uniform_work_group_size: 1
    .uses_dynamic_stack: false
    .vgpr_count:     7
    .vgpr_spill_count: 0
    .wavefront_size: 32
  - .args:
      - .offset:         0
        .size:           4
        .value_kind:     by_value
      - .address_space:  global
        .offset:         8
        .size:           8
        .value_kind:     global_buffer
      - .offset:         16
        .size:           8
        .value_kind:     by_value
      - .actual_access:  read_only
        .address_space:  global
        .offset:         24
        .size:           8
        .value_kind:     global_buffer
      - .offset:         32
        .size:           8
        .value_kind:     by_value
      - .offset:         40
        .size:           8
        .value_kind:     by_value
      - .actual_access:  read_only
        .address_space:  global
        .offset:         48
        .size:           8
        .value_kind:     global_buffer
      - .offset:         56
        .size:           8
        .value_kind:     by_value
      - .offset:         64
        .size:           8
        .value_kind:     by_value
      - .offset:         72
        .size:           4
        .value_kind:     by_value
    .group_segment_fixed_size: 0
    .kernarg_segment_align: 8
    .kernarg_segment_size: 76
    .language:       OpenCL C
    .language_version:
      - 2
      - 0
    .max_flat_workgroup_size: 256
    .name:           _ZL22rocblas_saxpy_2_kernelILi256EfPKfPKPK16rocblas_bfloat16PKPS2_EviT1_lT2_llT3_lli
    .private_segment_fixed_size: 0
    .sgpr_count:     28
    .sgpr_spill_count: 0
    .symbol:         _ZL22rocblas_saxpy_2_kernelILi256EfPKfPKPK16rocblas_bfloat16PKPS2_EviT1_lT2_llT3_lli.kd
    .uniform_work_group_size: 1
    .uses_dynamic_stack: false
    .vgpr_count:     10
    .vgpr_spill_count: 0
    .wavefront_size: 32
  - .args:
      - .offset:         0
        .size:           4
        .value_kind:     by_value
      - .offset:         4
        .size:           4
        .value_kind:     by_value
      - .offset:         8
        .size:           8
        .value_kind:     by_value
      - .actual_access:  read_only
        .address_space:  global
        .offset:         16
        .size:           8
        .value_kind:     global_buffer
      - .offset:         24
        .size:           8
        .value_kind:     by_value
      - .offset:         32
        .size:           8
        .value_kind:     by_value
      - .actual_access:  read_only
        .address_space:  global
        .offset:         40
        .size:           8
        .value_kind:     global_buffer
      - .offset:         48
        .size:           8
        .value_kind:     by_value
      - .offset:         56
        .size:           8
        .value_kind:     by_value
      - .offset:         64
        .size:           4
        .value_kind:     by_value
    .group_segment_fixed_size: 0
    .kernarg_segment_align: 8
    .kernarg_segment_size: 68
    .language:       OpenCL C
    .language_version:
      - 2
      - 0
    .max_flat_workgroup_size: 256
    .name:           _ZL22rocblas_saxpy_2_kernelILi256EffPKPK16rocblas_bfloat16PKPS0_EviT1_lT2_llT3_lli
    .private_segment_fixed_size: 0
    .sgpr_count:     20
    .sgpr_spill_count: 0
    .symbol:         _ZL22rocblas_saxpy_2_kernelILi256EffPKPK16rocblas_bfloat16PKPS0_EviT1_lT2_llT3_lli.kd
    .uniform_work_group_size: 1
    .uses_dynamic_stack: false
    .vgpr_count:     10
    .vgpr_spill_count: 0
    .wavefront_size: 32
  - .args:
      - .offset:         0
        .size:           4
        .value_kind:     by_value
      - .address_space:  global
        .offset:         8
        .size:           8
        .value_kind:     global_buffer
      - .offset:         16
        .size:           8
        .value_kind:     by_value
      - .address_space:  global
        .offset:         24
        .size:           8
        .value_kind:     global_buffer
      - .offset:         32
        .size:           8
        .value_kind:     by_value
      - .offset:         40
        .size:           4
        .value_kind:     by_value
      - .offset:         48
        .size:           8
        .value_kind:     by_value
      - .address_space:  global
        .offset:         56
        .size:           8
        .value_kind:     global_buffer
      - .offset:         64
        .size:           8
        .value_kind:     by_value
      - .offset:         72
        .size:           4
        .value_kind:     by_value
      - .offset:         80
        .size:           8
        .value_kind:     by_value
      - .offset:         88
        .size:           4
        .value_kind:     by_value
      - .offset:         96
        .size:           4
        .value_kind:     hidden_block_count_x
      - .offset:         100
        .size:           4
        .value_kind:     hidden_block_count_y
      - .offset:         104
        .size:           4
        .value_kind:     hidden_block_count_z
      - .offset:         108
        .size:           2
        .value_kind:     hidden_group_size_x
      - .offset:         110
        .size:           2
        .value_kind:     hidden_group_size_y
      - .offset:         112
        .size:           2
        .value_kind:     hidden_group_size_z
      - .offset:         114
        .size:           2
        .value_kind:     hidden_remainder_x
      - .offset:         116
        .size:           2
        .value_kind:     hidden_remainder_y
      - .offset:         118
        .size:           2
        .value_kind:     hidden_remainder_z
      - .offset:         136
        .size:           8
        .value_kind:     hidden_global_offset_x
      - .offset:         144
        .size:           8
        .value_kind:     hidden_global_offset_y
      - .offset:         152
        .size:           8
        .value_kind:     hidden_global_offset_z
      - .offset:         160
        .size:           2
        .value_kind:     hidden_grid_dims
    .group_segment_fixed_size: 0
    .kernarg_segment_align: 8
    .kernarg_segment_size: 352
    .language:       OpenCL C
    .language_version:
      - 2
      - 0
    .max_flat_workgroup_size: 1024
    .name:           _ZL27rocblas_axpy_kernel_batchedIiLi128ELi8EfPKfPKPK16rocblas_bfloat16PKPS2_EviT3_lT4_lT_lT5_lSC_li
    .private_segment_fixed_size: 0
    .sgpr_count:     19
    .sgpr_spill_count: 0
    .symbol:         _ZL27rocblas_axpy_kernel_batchedIiLi128ELi8EfPKfPKPK16rocblas_bfloat16PKPS2_EviT3_lT4_lT_lT5_lSC_li.kd
    .uniform_work_group_size: 1
    .uses_dynamic_stack: false
    .vgpr_count:     12
    .vgpr_spill_count: 0
    .wavefront_size: 32
  - .args:
      - .offset:         0
        .size:           4
        .value_kind:     by_value
      - .offset:         4
        .size:           4
        .value_kind:     by_value
      - .offset:         8
        .size:           8
        .value_kind:     by_value
      - .address_space:  global
        .offset:         16
        .size:           8
        .value_kind:     global_buffer
      - .offset:         24
        .size:           8
        .value_kind:     by_value
      - .offset:         32
        .size:           4
        .value_kind:     by_value
      - .offset:         40
        .size:           8
        .value_kind:     by_value
      - .address_space:  global
        .offset:         48
        .size:           8
        .value_kind:     global_buffer
      - .offset:         56
        .size:           8
        .value_kind:     by_value
      - .offset:         64
        .size:           4
        .value_kind:     by_value
      - .offset:         72
        .size:           8
        .value_kind:     by_value
      - .offset:         80
        .size:           4
        .value_kind:     by_value
      - .offset:         88
        .size:           4
        .value_kind:     hidden_block_count_x
      - .offset:         92
        .size:           4
        .value_kind:     hidden_block_count_y
      - .offset:         96
        .size:           4
        .value_kind:     hidden_block_count_z
      - .offset:         100
        .size:           2
        .value_kind:     hidden_group_size_x
      - .offset:         102
        .size:           2
        .value_kind:     hidden_group_size_y
      - .offset:         104
        .size:           2
        .value_kind:     hidden_group_size_z
      - .offset:         106
        .size:           2
        .value_kind:     hidden_remainder_x
      - .offset:         108
        .size:           2
        .value_kind:     hidden_remainder_y
      - .offset:         110
        .size:           2
        .value_kind:     hidden_remainder_z
      - .offset:         128
        .size:           8
        .value_kind:     hidden_global_offset_x
      - .offset:         136
        .size:           8
        .value_kind:     hidden_global_offset_y
      - .offset:         144
        .size:           8
        .value_kind:     hidden_global_offset_z
      - .offset:         152
        .size:           2
        .value_kind:     hidden_grid_dims
    .group_segment_fixed_size: 0
    .kernarg_segment_align: 8
    .kernarg_segment_size: 344
    .language:       OpenCL C
    .language_version:
      - 2
      - 0
    .max_flat_workgroup_size: 1024
    .name:           _ZL27rocblas_axpy_kernel_batchedIiLi128ELi8EffPKPK16rocblas_bfloat16PKPS0_EviT3_lT4_lT_lT5_lSA_li
    .private_segment_fixed_size: 0
    .sgpr_count:     17
    .sgpr_spill_count: 0
    .symbol:         _ZL27rocblas_axpy_kernel_batchedIiLi128ELi8EffPKPK16rocblas_bfloat16PKPS0_EviT3_lT4_lT_lT5_lSA_li.kd
    .uniform_work_group_size: 1
    .uses_dynamic_stack: false
    .vgpr_count:     11
    .vgpr_spill_count: 0
    .wavefront_size: 32
  - .args:
      - .offset:         0
        .size:           4
        .value_kind:     by_value
      - .address_space:  global
        .offset:         8
        .size:           8
        .value_kind:     global_buffer
      - .offset:         16
        .size:           8
        .value_kind:     by_value
      - .actual_access:  read_only
        .address_space:  global
        .offset:         24
        .size:           8
        .value_kind:     global_buffer
      - .offset:         32
        .size:           8
        .value_kind:     by_value
      - .offset:         40
        .size:           4
        .value_kind:     by_value
      - .offset:         48
        .size:           8
        .value_kind:     by_value
      - .actual_access:  read_only
        .address_space:  global
        .offset:         56
        .size:           8
        .value_kind:     global_buffer
      - .offset:         64
        .size:           8
        .value_kind:     by_value
      - .offset:         72
        .size:           4
        .value_kind:     by_value
      - .offset:         80
        .size:           8
        .value_kind:     by_value
      - .offset:         88
        .size:           4
        .value_kind:     by_value
    .group_segment_fixed_size: 0
    .kernarg_segment_align: 8
    .kernarg_segment_size: 92
    .language:       OpenCL C
    .language_version:
      - 2
      - 0
    .max_flat_workgroup_size: 256
    .name:           _ZL19rocblas_axpy_kernelIiLi256EfPKfPKPK16rocblas_bfloat16PKPS2_EviT2_lT3_lT_lT4_lSC_li
    .private_segment_fixed_size: 0
    .sgpr_count:     24
    .sgpr_spill_count: 0
    .symbol:         _ZL19rocblas_axpy_kernelIiLi256EfPKfPKPK16rocblas_bfloat16PKPS2_EviT2_lT3_lT_lT4_lSC_li.kd
    .uniform_work_group_size: 1
    .uses_dynamic_stack: false
    .vgpr_count:     10
    .vgpr_spill_count: 0
    .wavefront_size: 32
  - .args:
      - .offset:         0
        .size:           4
        .value_kind:     by_value
      - .offset:         4
        .size:           4
        .value_kind:     by_value
      - .offset:         8
        .size:           8
        .value_kind:     by_value
      - .actual_access:  read_only
        .address_space:  global
        .offset:         16
        .size:           8
        .value_kind:     global_buffer
      - .offset:         24
        .size:           8
        .value_kind:     by_value
      - .offset:         32
        .size:           4
        .value_kind:     by_value
      - .offset:         40
        .size:           8
        .value_kind:     by_value
      - .actual_access:  read_only
        .address_space:  global
        .offset:         48
        .size:           8
        .value_kind:     global_buffer
      - .offset:         56
        .size:           8
        .value_kind:     by_value
      - .offset:         64
        .size:           4
        .value_kind:     by_value
      - .offset:         72
        .size:           8
        .value_kind:     by_value
      - .offset:         80
        .size:           4
        .value_kind:     by_value
    .group_segment_fixed_size: 0
    .kernarg_segment_align: 8
    .kernarg_segment_size: 84
    .language:       OpenCL C
    .language_version:
      - 2
      - 0
    .max_flat_workgroup_size: 256
    .name:           _ZL19rocblas_axpy_kernelIiLi256EffPKPK16rocblas_bfloat16PKPS0_EviT2_lT3_lT_lT4_lSA_li
    .private_segment_fixed_size: 0
    .sgpr_count:     20
    .sgpr_spill_count: 0
    .symbol:         _ZL19rocblas_axpy_kernelIiLi256EffPKPK16rocblas_bfloat16PKPS0_EviT2_lT3_lT_lT4_lSA_li.kd
    .uniform_work_group_size: 1
    .uses_dynamic_stack: false
    .vgpr_count:     10
    .vgpr_spill_count: 0
    .wavefront_size: 32
  - .args:
      - .offset:         0
        .size:           4
        .value_kind:     by_value
      - .address_space:  global
        .offset:         8
        .size:           8
        .value_kind:     global_buffer
      - .offset:         16
        .size:           8
        .value_kind:     by_value
      - .actual_access:  read_only
        .address_space:  global
        .offset:         24
        .size:           8
        .value_kind:     global_buffer
      - .offset:         32
        .size:           8
        .value_kind:     by_value
      - .offset:         40
        .size:           8
        .value_kind:     by_value
      - .offset:         48
        .size:           8
        .value_kind:     by_value
      - .actual_access:  read_only
        .address_space:  global
        .offset:         56
        .size:           8
        .value_kind:     global_buffer
      - .offset:         64
        .size:           8
        .value_kind:     by_value
      - .offset:         72
        .size:           8
        .value_kind:     by_value
      - .offset:         80
        .size:           8
        .value_kind:     by_value
      - .offset:         88
        .size:           4
        .value_kind:     by_value
    .group_segment_fixed_size: 0
    .kernarg_segment_align: 8
    .kernarg_segment_size: 92
    .language:       OpenCL C
    .language_version:
      - 2
      - 0
    .max_flat_workgroup_size: 256
    .name:           _ZL19rocblas_axpy_kernelIlLi256EfPKfPKPK16rocblas_bfloat16PKPS2_EviT2_lT3_lT_lT4_lSC_li
    .private_segment_fixed_size: 0
    .sgpr_count:     26
    .sgpr_spill_count: 0
    .symbol:         _ZL19rocblas_axpy_kernelIlLi256EfPKfPKPK16rocblas_bfloat16PKPS2_EviT2_lT3_lT_lT4_lSC_li.kd
    .uniform_work_group_size: 1
    .uses_dynamic_stack: false
    .vgpr_count:     10
    .vgpr_spill_count: 0
    .wavefront_size: 32
  - .args:
      - .offset:         0
        .size:           4
        .value_kind:     by_value
      - .offset:         4
        .size:           4
        .value_kind:     by_value
      - .offset:         8
        .size:           8
        .value_kind:     by_value
      - .actual_access:  read_only
        .address_space:  global
        .offset:         16
        .size:           8
        .value_kind:     global_buffer
      - .offset:         24
        .size:           8
        .value_kind:     by_value
      - .offset:         32
        .size:           8
        .value_kind:     by_value
      - .offset:         40
        .size:           8
        .value_kind:     by_value
      - .actual_access:  read_only
        .address_space:  global
        .offset:         48
        .size:           8
        .value_kind:     global_buffer
      - .offset:         56
        .size:           8
        .value_kind:     by_value
      - .offset:         64
        .size:           8
        .value_kind:     by_value
      - .offset:         72
        .size:           8
        .value_kind:     by_value
      - .offset:         80
        .size:           4
        .value_kind:     by_value
    .group_segment_fixed_size: 0
    .kernarg_segment_align: 8
    .kernarg_segment_size: 84
    .language:       OpenCL C
    .language_version:
      - 2
      - 0
    .max_flat_workgroup_size: 256
    .name:           _ZL19rocblas_axpy_kernelIlLi256EffPKPK16rocblas_bfloat16PKPS0_EviT2_lT3_lT_lT4_lSA_li
    .private_segment_fixed_size: 0
    .sgpr_count:     22
    .sgpr_spill_count: 0
    .symbol:         _ZL19rocblas_axpy_kernelIlLi256EffPKPK16rocblas_bfloat16PKPS0_EviT2_lT3_lT_lT4_lSA_li.kd
    .uniform_work_group_size: 1
    .uses_dynamic_stack: false
    .vgpr_count:     10
    .vgpr_spill_count: 0
    .wavefront_size: 32
  - .args:
      - .offset:         0
        .size:           4
        .value_kind:     by_value
      - .address_space:  global
        .offset:         8
        .size:           8
        .value_kind:     global_buffer
      - .offset:         16
        .size:           8
        .value_kind:     by_value
      - .actual_access:  read_only
        .address_space:  global
        .offset:         24
        .size:           8
        .value_kind:     global_buffer
      - .offset:         32
        .size:           8
        .value_kind:     by_value
      - .offset:         40
        .size:           8
        .value_kind:     by_value
      - .actual_access:  read_only
        .address_space:  global
        .offset:         48
        .size:           8
        .value_kind:     global_buffer
      - .offset:         56
        .size:           8
        .value_kind:     by_value
      - .offset:         64
        .size:           8
        .value_kind:     by_value
      - .offset:         72
        .size:           4
        .value_kind:     by_value
    .group_segment_fixed_size: 0
    .kernarg_segment_align: 8
    .kernarg_segment_size: 76
    .language:       OpenCL C
    .language_version:
      - 2
      - 0
    .max_flat_workgroup_size: 256
    .name:           _ZL22rocblas_saxpy_2_kernelILi256EfPKDF16_PKS1_PKPDF16_EviT1_lT2_llT3_lli
    .private_segment_fixed_size: 0
    .sgpr_count:     28
    .sgpr_spill_count: 0
    .symbol:         _ZL22rocblas_saxpy_2_kernelILi256EfPKDF16_PKS1_PKPDF16_EviT1_lT2_llT3_lli.kd
    .uniform_work_group_size: 1
    .uses_dynamic_stack: false
    .vgpr_count:     10
    .vgpr_spill_count: 0
    .wavefront_size: 32
  - .args:
      - .offset:         0
        .size:           4
        .value_kind:     by_value
      - .offset:         4
        .size:           2
        .value_kind:     by_value
      - .offset:         8
        .size:           8
        .value_kind:     by_value
      - .actual_access:  read_only
        .address_space:  global
        .offset:         16
        .size:           8
        .value_kind:     global_buffer
      - .offset:         24
        .size:           8
        .value_kind:     by_value
      - .offset:         32
        .size:           8
        .value_kind:     by_value
      - .actual_access:  read_only
        .address_space:  global
        .offset:         40
        .size:           8
        .value_kind:     global_buffer
      - .offset:         48
        .size:           8
        .value_kind:     by_value
      - .offset:         56
        .size:           8
        .value_kind:     by_value
      - .offset:         64
        .size:           4
        .value_kind:     by_value
    .group_segment_fixed_size: 0
    .kernarg_segment_align: 8
    .kernarg_segment_size: 68
    .language:       OpenCL C
    .language_version:
      - 2
      - 0
    .max_flat_workgroup_size: 256
    .name:           _ZL22rocblas_saxpy_2_kernelILi256EfDF16_PKPKDF16_PKPDF16_EviT1_lT2_llT3_lli
    .private_segment_fixed_size: 0
    .sgpr_count:     20
    .sgpr_spill_count: 0
    .symbol:         _ZL22rocblas_saxpy_2_kernelILi256EfDF16_PKPKDF16_PKPDF16_EviT1_lT2_llT3_lli.kd
    .uniform_work_group_size: 1
    .uses_dynamic_stack: false
    .vgpr_count:     8
    .vgpr_spill_count: 0
    .wavefront_size: 32
  - .args:
      - .offset:         0
        .size:           4
        .value_kind:     by_value
      - .address_space:  global
        .offset:         8
        .size:           8
        .value_kind:     global_buffer
      - .offset:         16
        .size:           8
        .value_kind:     by_value
      - .address_space:  global
        .offset:         24
        .size:           8
        .value_kind:     global_buffer
      - .offset:         32
        .size:           8
        .value_kind:     by_value
      - .offset:         40
        .size:           4
        .value_kind:     by_value
      - .offset:         48
        .size:           8
        .value_kind:     by_value
      - .address_space:  global
        .offset:         56
        .size:           8
        .value_kind:     global_buffer
      - .offset:         64
        .size:           8
        .value_kind:     by_value
      - .offset:         72
        .size:           4
        .value_kind:     by_value
      - .offset:         80
        .size:           8
        .value_kind:     by_value
      - .offset:         88
        .size:           4
        .value_kind:     by_value
      - .offset:         96
        .size:           4
        .value_kind:     hidden_block_count_x
      - .offset:         100
        .size:           4
        .value_kind:     hidden_block_count_y
      - .offset:         104
        .size:           4
        .value_kind:     hidden_block_count_z
      - .offset:         108
        .size:           2
        .value_kind:     hidden_group_size_x
      - .offset:         110
        .size:           2
        .value_kind:     hidden_group_size_y
      - .offset:         112
        .size:           2
        .value_kind:     hidden_group_size_z
      - .offset:         114
        .size:           2
        .value_kind:     hidden_remainder_x
      - .offset:         116
        .size:           2
        .value_kind:     hidden_remainder_y
      - .offset:         118
        .size:           2
        .value_kind:     hidden_remainder_z
      - .offset:         136
        .size:           8
        .value_kind:     hidden_global_offset_x
      - .offset:         144
        .size:           8
        .value_kind:     hidden_global_offset_y
      - .offset:         152
        .size:           8
        .value_kind:     hidden_global_offset_z
      - .offset:         160
        .size:           2
        .value_kind:     hidden_grid_dims
    .group_segment_fixed_size: 0
    .kernarg_segment_align: 8
    .kernarg_segment_size: 352
    .language:       OpenCL C
    .language_version:
      - 2
      - 0
    .max_flat_workgroup_size: 1024
    .name:           _ZL27rocblas_axpy_kernel_batchedIiLi128ELi8EfPKDF16_PKS1_PKPDF16_EviT3_lT4_lT_lT5_lS9_li
    .private_segment_fixed_size: 0
    .sgpr_count:     18
    .sgpr_spill_count: 0
    .symbol:         _ZL27rocblas_axpy_kernel_batchedIiLi128ELi8EfPKDF16_PKS1_PKPDF16_EviT3_lT4_lT_lT5_lS9_li.kd
    .uniform_work_group_size: 1
    .uses_dynamic_stack: false
    .vgpr_count:     16
    .vgpr_spill_count: 0
    .wavefront_size: 32
  - .args:
      - .offset:         0
        .size:           4
        .value_kind:     by_value
      - .offset:         4
        .size:           2
        .value_kind:     by_value
      - .offset:         8
        .size:           8
        .value_kind:     by_value
      - .address_space:  global
        .offset:         16
        .size:           8
        .value_kind:     global_buffer
      - .offset:         24
        .size:           8
        .value_kind:     by_value
      - .offset:         32
        .size:           4
        .value_kind:     by_value
      - .offset:         40
        .size:           8
        .value_kind:     by_value
      - .address_space:  global
        .offset:         48
        .size:           8
        .value_kind:     global_buffer
      - .offset:         56
        .size:           8
        .value_kind:     by_value
      - .offset:         64
        .size:           4
        .value_kind:     by_value
      - .offset:         72
        .size:           8
        .value_kind:     by_value
      - .offset:         80
        .size:           4
        .value_kind:     by_value
      - .offset:         88
        .size:           4
        .value_kind:     hidden_block_count_x
      - .offset:         92
        .size:           4
        .value_kind:     hidden_block_count_y
      - .offset:         96
        .size:           4
        .value_kind:     hidden_block_count_z
      - .offset:         100
        .size:           2
        .value_kind:     hidden_group_size_x
      - .offset:         102
        .size:           2
        .value_kind:     hidden_group_size_y
      - .offset:         104
        .size:           2
        .value_kind:     hidden_group_size_z
      - .offset:         106
        .size:           2
        .value_kind:     hidden_remainder_x
      - .offset:         108
        .size:           2
        .value_kind:     hidden_remainder_y
      - .offset:         110
        .size:           2
        .value_kind:     hidden_remainder_z
      - .offset:         128
        .size:           8
        .value_kind:     hidden_global_offset_x
      - .offset:         136
        .size:           8
        .value_kind:     hidden_global_offset_y
      - .offset:         144
        .size:           8
        .value_kind:     hidden_global_offset_z
      - .offset:         152
        .size:           2
        .value_kind:     hidden_grid_dims
    .group_segment_fixed_size: 0
    .kernarg_segment_align: 8
    .kernarg_segment_size: 344
    .language:       OpenCL C
    .language_version:
      - 2
      - 0
    .max_flat_workgroup_size: 1024
    .name:           _ZL27rocblas_axpy_kernel_batchedIiLi128ELi8EfDF16_PKPKDF16_PKPDF16_EviT3_lT4_lT_lT5_lS9_li
    .private_segment_fixed_size: 0
    .sgpr_count:     17
    .sgpr_spill_count: 0
    .symbol:         _ZL27rocblas_axpy_kernel_batchedIiLi128ELi8EfDF16_PKPKDF16_PKPDF16_EviT3_lT4_lT_lT5_lS9_li.kd
    .uniform_work_group_size: 1
    .uses_dynamic_stack: false
    .vgpr_count:     11
    .vgpr_spill_count: 0
    .wavefront_size: 32
  - .args:
      - .offset:         0
        .size:           4
        .value_kind:     by_value
      - .address_space:  global
        .offset:         8
        .size:           8
        .value_kind:     global_buffer
      - .offset:         16
        .size:           8
        .value_kind:     by_value
      - .actual_access:  read_only
        .address_space:  global
        .offset:         24
        .size:           8
        .value_kind:     global_buffer
      - .offset:         32
        .size:           8
        .value_kind:     by_value
      - .offset:         40
        .size:           4
        .value_kind:     by_value
      - .offset:         48
        .size:           8
        .value_kind:     by_value
      - .actual_access:  read_only
        .address_space:  global
        .offset:         56
        .size:           8
        .value_kind:     global_buffer
      - .offset:         64
        .size:           8
        .value_kind:     by_value
      - .offset:         72
        .size:           4
        .value_kind:     by_value
      - .offset:         80
        .size:           8
        .value_kind:     by_value
      - .offset:         88
        .size:           4
        .value_kind:     by_value
    .group_segment_fixed_size: 0
    .kernarg_segment_align: 8
    .kernarg_segment_size: 92
    .language:       OpenCL C
    .language_version:
      - 2
      - 0
    .max_flat_workgroup_size: 256
    .name:           _ZL19rocblas_axpy_kernelIiLi256EfPKDF16_PKS1_PKPDF16_EviT2_lT3_lT_lT4_lS9_li
    .private_segment_fixed_size: 0
    .sgpr_count:     28
    .sgpr_spill_count: 0
    .symbol:         _ZL19rocblas_axpy_kernelIiLi256EfPKDF16_PKS1_PKPDF16_EviT2_lT3_lT_lT4_lS9_li.kd
    .uniform_work_group_size: 1
    .uses_dynamic_stack: false
    .vgpr_count:     12
    .vgpr_spill_count: 0
    .wavefront_size: 32
  - .args:
      - .offset:         0
        .size:           4
        .value_kind:     by_value
      - .offset:         4
        .size:           2
        .value_kind:     by_value
      - .offset:         8
        .size:           8
        .value_kind:     by_value
      - .actual_access:  read_only
        .address_space:  global
        .offset:         16
        .size:           8
        .value_kind:     global_buffer
      - .offset:         24
        .size:           8
        .value_kind:     by_value
      - .offset:         32
        .size:           4
        .value_kind:     by_value
      - .offset:         40
        .size:           8
        .value_kind:     by_value
      - .actual_access:  read_only
        .address_space:  global
        .offset:         48
        .size:           8
        .value_kind:     global_buffer
      - .offset:         56
        .size:           8
        .value_kind:     by_value
      - .offset:         64
        .size:           4
        .value_kind:     by_value
      - .offset:         72
        .size:           8
        .value_kind:     by_value
      - .offset:         80
        .size:           4
        .value_kind:     by_value
    .group_segment_fixed_size: 0
    .kernarg_segment_align: 8
    .kernarg_segment_size: 84
    .language:       OpenCL C
    .language_version:
      - 2
      - 0
    .max_flat_workgroup_size: 256
    .name:           _ZL19rocblas_axpy_kernelIiLi256EfDF16_PKPKDF16_PKPDF16_EviT2_lT3_lT_lT4_lS9_li
    .private_segment_fixed_size: 0
    .sgpr_count:     20
    .sgpr_spill_count: 0
    .symbol:         _ZL19rocblas_axpy_kernelIiLi256EfDF16_PKPKDF16_PKPDF16_EviT2_lT3_lT_lT4_lS9_li.kd
    .uniform_work_group_size: 1
    .uses_dynamic_stack: false
    .vgpr_count:     10
    .vgpr_spill_count: 0
    .wavefront_size: 32
  - .args:
      - .offset:         0
        .size:           4
        .value_kind:     by_value
      - .address_space:  global
        .offset:         8
        .size:           8
        .value_kind:     global_buffer
      - .offset:         16
        .size:           8
        .value_kind:     by_value
      - .actual_access:  read_only
        .address_space:  global
        .offset:         24
        .size:           8
        .value_kind:     global_buffer
      - .offset:         32
        .size:           8
        .value_kind:     by_value
      - .offset:         40
        .size:           8
        .value_kind:     by_value
      - .offset:         48
        .size:           8
        .value_kind:     by_value
      - .actual_access:  read_only
        .address_space:  global
        .offset:         56
        .size:           8
        .value_kind:     global_buffer
      - .offset:         64
        .size:           8
        .value_kind:     by_value
      - .offset:         72
        .size:           8
        .value_kind:     by_value
      - .offset:         80
        .size:           8
        .value_kind:     by_value
      - .offset:         88
        .size:           4
        .value_kind:     by_value
    .group_segment_fixed_size: 0
    .kernarg_segment_align: 8
    .kernarg_segment_size: 92
    .language:       OpenCL C
    .language_version:
      - 2
      - 0
    .max_flat_workgroup_size: 256
    .name:           _ZL19rocblas_axpy_kernelIlLi256EfPKDF16_PKS1_PKPDF16_EviT2_lT3_lT_lT4_lS9_li
    .private_segment_fixed_size: 0
    .sgpr_count:     26
    .sgpr_spill_count: 0
    .symbol:         _ZL19rocblas_axpy_kernelIlLi256EfPKDF16_PKS1_PKPDF16_EviT2_lT3_lT_lT4_lS9_li.kd
    .uniform_work_group_size: 1
    .uses_dynamic_stack: false
    .vgpr_count:     12
    .vgpr_spill_count: 0
    .wavefront_size: 32
  - .args:
      - .offset:         0
        .size:           4
        .value_kind:     by_value
      - .offset:         4
        .size:           2
        .value_kind:     by_value
      - .offset:         8
        .size:           8
        .value_kind:     by_value
      - .actual_access:  read_only
        .address_space:  global
        .offset:         16
        .size:           8
        .value_kind:     global_buffer
      - .offset:         24
        .size:           8
        .value_kind:     by_value
      - .offset:         32
        .size:           8
        .value_kind:     by_value
      - .offset:         40
        .size:           8
        .value_kind:     by_value
      - .actual_access:  read_only
        .address_space:  global
        .offset:         48
        .size:           8
        .value_kind:     global_buffer
      - .offset:         56
        .size:           8
        .value_kind:     by_value
      - .offset:         64
        .size:           8
        .value_kind:     by_value
      - .offset:         72
        .size:           8
        .value_kind:     by_value
      - .offset:         80
        .size:           4
        .value_kind:     by_value
    .group_segment_fixed_size: 0
    .kernarg_segment_align: 8
    .kernarg_segment_size: 84
    .language:       OpenCL C
    .language_version:
      - 2
      - 0
    .max_flat_workgroup_size: 256
    .name:           _ZL19rocblas_axpy_kernelIlLi256EfDF16_PKPKDF16_PKPDF16_EviT2_lT3_lT_lT4_lS9_li
    .private_segment_fixed_size: 0
    .sgpr_count:     22
    .sgpr_spill_count: 0
    .symbol:         _ZL19rocblas_axpy_kernelIlLi256EfDF16_PKPKDF16_PKPDF16_EviT2_lT3_lT_lT4_lS9_li.kd
    .uniform_work_group_size: 1
    .uses_dynamic_stack: false
    .vgpr_count:     10
    .vgpr_spill_count: 0
    .wavefront_size: 32
  - .args:
      - .offset:         0
        .size:           4
        .value_kind:     by_value
      - .address_space:  global
        .offset:         8
        .size:           8
        .value_kind:     global_buffer
      - .offset:         16
        .size:           8
        .value_kind:     by_value
      - .address_space:  global
        .offset:         24
        .size:           8
        .value_kind:     global_buffer
      - .offset:         32
        .size:           8
        .value_kind:     by_value
      - .offset:         40
        .size:           8
        .value_kind:     by_value
      - .address_space:  global
        .offset:         48
        .size:           8
        .value_kind:     global_buffer
      - .offset:         56
        .size:           8
        .value_kind:     by_value
      - .offset:         64
        .size:           8
        .value_kind:     by_value
      - .offset:         72
        .size:           4
        .value_kind:     by_value
    .group_segment_fixed_size: 0
    .kernarg_segment_align: 8
    .kernarg_segment_size: 76
    .language:       OpenCL C
    .language_version:
      - 2
      - 0
    .max_flat_workgroup_size: 256
    .name:           _ZL26rocblas_haxpy_mod_8_kernelILi256EPKfPKPKDF16_PKPDF16_EviT0_lT1_llT2_lli
    .private_segment_fixed_size: 0
    .sgpr_count:     28
    .sgpr_spill_count: 0
    .symbol:         _ZL26rocblas_haxpy_mod_8_kernelILi256EPKfPKPKDF16_PKPDF16_EviT0_lT1_llT2_lli.kd
    .uniform_work_group_size: 1
    .uses_dynamic_stack: false
    .vgpr_count:     8
    .vgpr_spill_count: 0
    .wavefront_size: 32
  - .args:
      - .offset:         0
        .size:           4
        .value_kind:     by_value
      - .offset:         4
        .size:           4
        .value_kind:     by_value
      - .offset:         8
        .size:           8
        .value_kind:     by_value
      - .address_space:  global
        .offset:         16
        .size:           8
        .value_kind:     global_buffer
      - .offset:         24
        .size:           8
        .value_kind:     by_value
      - .offset:         32
        .size:           8
        .value_kind:     by_value
      - .address_space:  global
        .offset:         40
        .size:           8
        .value_kind:     global_buffer
      - .offset:         48
        .size:           8
        .value_kind:     by_value
      - .offset:         56
        .size:           8
        .value_kind:     by_value
      - .offset:         64
        .size:           4
        .value_kind:     by_value
    .group_segment_fixed_size: 0
    .kernarg_segment_align: 8
    .kernarg_segment_size: 68
    .language:       OpenCL C
    .language_version:
      - 2
      - 0
    .max_flat_workgroup_size: 256
    .name:           _ZL26rocblas_haxpy_mod_8_kernelILi256EfPKPKDF16_PKPDF16_EviT0_lT1_llT2_lli
    .private_segment_fixed_size: 0
    .sgpr_count:     20
    .sgpr_spill_count: 0
    .symbol:         _ZL26rocblas_haxpy_mod_8_kernelILi256EfPKPKDF16_PKPDF16_EviT0_lT1_llT2_lli.kd
    .uniform_work_group_size: 1
    .uses_dynamic_stack: false
    .vgpr_count:     8
    .vgpr_spill_count: 0
    .wavefront_size: 32
  - .args:
      - .offset:         0
        .size:           4
        .value_kind:     by_value
      - .address_space:  global
        .offset:         8
        .size:           8
        .value_kind:     global_buffer
      - .offset:         16
        .size:           8
        .value_kind:     by_value
      - .actual_access:  read_only
        .address_space:  global
        .offset:         24
        .size:           8
        .value_kind:     global_buffer
      - .offset:         32
        .size:           8
        .value_kind:     by_value
      - .offset:         40
        .size:           8
        .value_kind:     by_value
      - .actual_access:  read_only
        .address_space:  global
        .offset:         48
        .size:           8
        .value_kind:     global_buffer
      - .offset:         56
        .size:           8
        .value_kind:     by_value
      - .offset:         64
        .size:           8
        .value_kind:     by_value
      - .offset:         72
        .size:           4
        .value_kind:     by_value
    .group_segment_fixed_size: 0
    .kernarg_segment_align: 8
    .kernarg_segment_size: 76
    .language:       OpenCL C
    .language_version:
      - 2
      - 0
    .max_flat_workgroup_size: 256
    .name:           _ZL22rocblas_saxpy_2_kernelILi256EfPKfPKPKDF16_PKPDF16_EviT1_lT2_llT3_lli
    .private_segment_fixed_size: 0
    .sgpr_count:     28
    .sgpr_spill_count: 0
    .symbol:         _ZL22rocblas_saxpy_2_kernelILi256EfPKfPKPKDF16_PKPDF16_EviT1_lT2_llT3_lli.kd
    .uniform_work_group_size: 1
    .uses_dynamic_stack: false
    .vgpr_count:     8
    .vgpr_spill_count: 0
    .wavefront_size: 32
  - .args:
      - .offset:         0
        .size:           4
        .value_kind:     by_value
      - .offset:         4
        .size:           4
        .value_kind:     by_value
      - .offset:         8
        .size:           8
        .value_kind:     by_value
      - .actual_access:  read_only
        .address_space:  global
        .offset:         16
        .size:           8
        .value_kind:     global_buffer
      - .offset:         24
        .size:           8
        .value_kind:     by_value
      - .offset:         32
        .size:           8
        .value_kind:     by_value
      - .actual_access:  read_only
        .address_space:  global
        .offset:         40
        .size:           8
        .value_kind:     global_buffer
      - .offset:         48
        .size:           8
        .value_kind:     by_value
      - .offset:         56
        .size:           8
        .value_kind:     by_value
      - .offset:         64
        .size:           4
        .value_kind:     by_value
    .group_segment_fixed_size: 0
    .kernarg_segment_align: 8
    .kernarg_segment_size: 68
    .language:       OpenCL C
    .language_version:
      - 2
      - 0
    .max_flat_workgroup_size: 256
    .name:           _ZL22rocblas_saxpy_2_kernelILi256EffPKPKDF16_PKPDF16_EviT1_lT2_llT3_lli
    .private_segment_fixed_size: 0
    .sgpr_count:     20
    .sgpr_spill_count: 0
    .symbol:         _ZL22rocblas_saxpy_2_kernelILi256EffPKPKDF16_PKPDF16_EviT1_lT2_llT3_lli.kd
    .uniform_work_group_size: 1
    .uses_dynamic_stack: false
    .vgpr_count:     8
    .vgpr_spill_count: 0
    .wavefront_size: 32
  - .args:
      - .offset:         0
        .size:           4
        .value_kind:     by_value
      - .address_space:  global
        .offset:         8
        .size:           8
        .value_kind:     global_buffer
      - .offset:         16
        .size:           8
        .value_kind:     by_value
      - .address_space:  global
        .offset:         24
        .size:           8
        .value_kind:     global_buffer
      - .offset:         32
        .size:           8
        .value_kind:     by_value
      - .offset:         40
        .size:           4
        .value_kind:     by_value
      - .offset:         48
        .size:           8
        .value_kind:     by_value
      - .address_space:  global
        .offset:         56
        .size:           8
        .value_kind:     global_buffer
      - .offset:         64
        .size:           8
        .value_kind:     by_value
      - .offset:         72
        .size:           4
        .value_kind:     by_value
      - .offset:         80
        .size:           8
        .value_kind:     by_value
      - .offset:         88
        .size:           4
        .value_kind:     by_value
      - .offset:         96
        .size:           4
        .value_kind:     hidden_block_count_x
      - .offset:         100
        .size:           4
        .value_kind:     hidden_block_count_y
      - .offset:         104
        .size:           4
        .value_kind:     hidden_block_count_z
      - .offset:         108
        .size:           2
        .value_kind:     hidden_group_size_x
      - .offset:         110
        .size:           2
        .value_kind:     hidden_group_size_y
      - .offset:         112
        .size:           2
        .value_kind:     hidden_group_size_z
      - .offset:         114
        .size:           2
        .value_kind:     hidden_remainder_x
      - .offset:         116
        .size:           2
        .value_kind:     hidden_remainder_y
      - .offset:         118
        .size:           2
        .value_kind:     hidden_remainder_z
      - .offset:         136
        .size:           8
        .value_kind:     hidden_global_offset_x
      - .offset:         144
        .size:           8
        .value_kind:     hidden_global_offset_y
      - .offset:         152
        .size:           8
        .value_kind:     hidden_global_offset_z
      - .offset:         160
        .size:           2
        .value_kind:     hidden_grid_dims
    .group_segment_fixed_size: 0
    .kernarg_segment_align: 8
    .kernarg_segment_size: 352
    .language:       OpenCL C
    .language_version:
      - 2
      - 0
    .max_flat_workgroup_size: 1024
    .name:           _ZL27rocblas_axpy_kernel_batchedIiLi128ELi8EfPKfPKPKDF16_PKPDF16_EviT3_lT4_lT_lT5_lSB_li
    .private_segment_fixed_size: 0
    .sgpr_count:     18
    .sgpr_spill_count: 0
    .symbol:         _ZL27rocblas_axpy_kernel_batchedIiLi128ELi8EfPKfPKPKDF16_PKPDF16_EviT3_lT4_lT_lT5_lSB_li.kd
    .uniform_work_group_size: 1
    .uses_dynamic_stack: false
    .vgpr_count:     16
    .vgpr_spill_count: 0
    .wavefront_size: 32
  - .args:
      - .offset:         0
        .size:           4
        .value_kind:     by_value
      - .offset:         4
        .size:           4
        .value_kind:     by_value
      - .offset:         8
        .size:           8
        .value_kind:     by_value
      - .address_space:  global
        .offset:         16
        .size:           8
        .value_kind:     global_buffer
      - .offset:         24
        .size:           8
        .value_kind:     by_value
      - .offset:         32
        .size:           4
        .value_kind:     by_value
      - .offset:         40
        .size:           8
        .value_kind:     by_value
      - .address_space:  global
        .offset:         48
        .size:           8
        .value_kind:     global_buffer
      - .offset:         56
        .size:           8
        .value_kind:     by_value
      - .offset:         64
        .size:           4
        .value_kind:     by_value
      - .offset:         72
        .size:           8
        .value_kind:     by_value
      - .offset:         80
        .size:           4
        .value_kind:     by_value
      - .offset:         88
        .size:           4
        .value_kind:     hidden_block_count_x
      - .offset:         92
        .size:           4
        .value_kind:     hidden_block_count_y
      - .offset:         96
        .size:           4
        .value_kind:     hidden_block_count_z
      - .offset:         100
        .size:           2
        .value_kind:     hidden_group_size_x
      - .offset:         102
        .size:           2
        .value_kind:     hidden_group_size_y
      - .offset:         104
        .size:           2
        .value_kind:     hidden_group_size_z
      - .offset:         106
        .size:           2
        .value_kind:     hidden_remainder_x
      - .offset:         108
        .size:           2
        .value_kind:     hidden_remainder_y
      - .offset:         110
        .size:           2
        .value_kind:     hidden_remainder_z
      - .offset:         128
        .size:           8
        .value_kind:     hidden_global_offset_x
      - .offset:         136
        .size:           8
        .value_kind:     hidden_global_offset_y
      - .offset:         144
        .size:           8
        .value_kind:     hidden_global_offset_z
      - .offset:         152
        .size:           2
        .value_kind:     hidden_grid_dims
    .group_segment_fixed_size: 0
    .kernarg_segment_align: 8
    .kernarg_segment_size: 344
    .language:       OpenCL C
    .language_version:
      - 2
      - 0
    .max_flat_workgroup_size: 1024
    .name:           _ZL27rocblas_axpy_kernel_batchedIiLi128ELi8EffPKPKDF16_PKPDF16_EviT3_lT4_lT_lT5_lS9_li
    .private_segment_fixed_size: 0
    .sgpr_count:     17
    .sgpr_spill_count: 0
    .symbol:         _ZL27rocblas_axpy_kernel_batchedIiLi128ELi8EffPKPKDF16_PKPDF16_EviT3_lT4_lT_lT5_lS9_li.kd
    .uniform_work_group_size: 1
    .uses_dynamic_stack: false
    .vgpr_count:     11
    .vgpr_spill_count: 0
    .wavefront_size: 32
  - .args:
      - .offset:         0
        .size:           4
        .value_kind:     by_value
      - .address_space:  global
        .offset:         8
        .size:           8
        .value_kind:     global_buffer
      - .offset:         16
        .size:           8
        .value_kind:     by_value
      - .actual_access:  read_only
        .address_space:  global
        .offset:         24
        .size:           8
        .value_kind:     global_buffer
      - .offset:         32
        .size:           8
        .value_kind:     by_value
      - .offset:         40
        .size:           4
        .value_kind:     by_value
      - .offset:         48
        .size:           8
        .value_kind:     by_value
      - .actual_access:  read_only
        .address_space:  global
        .offset:         56
        .size:           8
        .value_kind:     global_buffer
      - .offset:         64
        .size:           8
        .value_kind:     by_value
      - .offset:         72
        .size:           4
        .value_kind:     by_value
      - .offset:         80
        .size:           8
        .value_kind:     by_value
      - .offset:         88
        .size:           4
        .value_kind:     by_value
    .group_segment_fixed_size: 0
    .kernarg_segment_align: 8
    .kernarg_segment_size: 92
    .language:       OpenCL C
    .language_version:
      - 2
      - 0
    .max_flat_workgroup_size: 256
    .name:           _ZL19rocblas_axpy_kernelIiLi256EfPKfPKPKDF16_PKPDF16_EviT2_lT3_lT_lT4_lSB_li
    .private_segment_fixed_size: 0
    .sgpr_count:     28
    .sgpr_spill_count: 0
    .symbol:         _ZL19rocblas_axpy_kernelIiLi256EfPKfPKPKDF16_PKPDF16_EviT2_lT3_lT_lT4_lSB_li.kd
    .uniform_work_group_size: 1
    .uses_dynamic_stack: false
    .vgpr_count:     10
    .vgpr_spill_count: 0
    .wavefront_size: 32
  - .args:
      - .offset:         0
        .size:           4
        .value_kind:     by_value
      - .offset:         4
        .size:           4
        .value_kind:     by_value
      - .offset:         8
        .size:           8
        .value_kind:     by_value
      - .actual_access:  read_only
        .address_space:  global
        .offset:         16
        .size:           8
        .value_kind:     global_buffer
      - .offset:         24
        .size:           8
        .value_kind:     by_value
      - .offset:         32
        .size:           4
        .value_kind:     by_value
      - .offset:         40
        .size:           8
        .value_kind:     by_value
      - .actual_access:  read_only
        .address_space:  global
        .offset:         48
        .size:           8
        .value_kind:     global_buffer
      - .offset:         56
        .size:           8
        .value_kind:     by_value
      - .offset:         64
        .size:           4
        .value_kind:     by_value
      - .offset:         72
        .size:           8
        .value_kind:     by_value
      - .offset:         80
        .size:           4
        .value_kind:     by_value
    .group_segment_fixed_size: 0
    .kernarg_segment_align: 8
    .kernarg_segment_size: 84
    .language:       OpenCL C
    .language_version:
      - 2
      - 0
    .max_flat_workgroup_size: 256
    .name:           _ZL19rocblas_axpy_kernelIiLi256EffPKPKDF16_PKPDF16_EviT2_lT3_lT_lT4_lS9_li
    .private_segment_fixed_size: 0
    .sgpr_count:     20
    .sgpr_spill_count: 0
    .symbol:         _ZL19rocblas_axpy_kernelIiLi256EffPKPKDF16_PKPDF16_EviT2_lT3_lT_lT4_lS9_li.kd
    .uniform_work_group_size: 1
    .uses_dynamic_stack: false
    .vgpr_count:     10
    .vgpr_spill_count: 0
    .wavefront_size: 32
  - .args:
      - .offset:         0
        .size:           4
        .value_kind:     by_value
      - .address_space:  global
        .offset:         8
        .size:           8
        .value_kind:     global_buffer
      - .offset:         16
        .size:           8
        .value_kind:     by_value
      - .actual_access:  read_only
        .address_space:  global
        .offset:         24
        .size:           8
        .value_kind:     global_buffer
      - .offset:         32
        .size:           8
        .value_kind:     by_value
      - .offset:         40
        .size:           8
        .value_kind:     by_value
      - .offset:         48
        .size:           8
        .value_kind:     by_value
      - .actual_access:  read_only
        .address_space:  global
        .offset:         56
        .size:           8
        .value_kind:     global_buffer
      - .offset:         64
        .size:           8
        .value_kind:     by_value
      - .offset:         72
        .size:           8
        .value_kind:     by_value
      - .offset:         80
        .size:           8
        .value_kind:     by_value
      - .offset:         88
        .size:           4
        .value_kind:     by_value
    .group_segment_fixed_size: 0
    .kernarg_segment_align: 8
    .kernarg_segment_size: 92
    .language:       OpenCL C
    .language_version:
      - 2
      - 0
    .max_flat_workgroup_size: 256
    .name:           _ZL19rocblas_axpy_kernelIlLi256EfPKfPKPKDF16_PKPDF16_EviT2_lT3_lT_lT4_lSB_li
    .private_segment_fixed_size: 0
    .sgpr_count:     28
    .sgpr_spill_count: 0
    .symbol:         _ZL19rocblas_axpy_kernelIlLi256EfPKfPKPKDF16_PKPDF16_EviT2_lT3_lT_lT4_lSB_li.kd
    .uniform_work_group_size: 1
    .uses_dynamic_stack: false
    .vgpr_count:     10
    .vgpr_spill_count: 0
    .wavefront_size: 32
  - .args:
      - .offset:         0
        .size:           4
        .value_kind:     by_value
      - .offset:         4
        .size:           4
        .value_kind:     by_value
      - .offset:         8
        .size:           8
        .value_kind:     by_value
      - .actual_access:  read_only
        .address_space:  global
        .offset:         16
        .size:           8
        .value_kind:     global_buffer
      - .offset:         24
        .size:           8
        .value_kind:     by_value
      - .offset:         32
        .size:           8
        .value_kind:     by_value
      - .offset:         40
        .size:           8
        .value_kind:     by_value
      - .actual_access:  read_only
        .address_space:  global
        .offset:         48
        .size:           8
        .value_kind:     global_buffer
      - .offset:         56
        .size:           8
        .value_kind:     by_value
      - .offset:         64
        .size:           8
        .value_kind:     by_value
      - .offset:         72
        .size:           8
        .value_kind:     by_value
      - .offset:         80
        .size:           4
        .value_kind:     by_value
    .group_segment_fixed_size: 0
    .kernarg_segment_align: 8
    .kernarg_segment_size: 84
    .language:       OpenCL C
    .language_version:
      - 2
      - 0
    .max_flat_workgroup_size: 256
    .name:           _ZL19rocblas_axpy_kernelIlLi256EffPKPKDF16_PKPDF16_EviT2_lT3_lT_lT4_lS9_li
    .private_segment_fixed_size: 0
    .sgpr_count:     22
    .sgpr_spill_count: 0
    .symbol:         _ZL19rocblas_axpy_kernelIlLi256EffPKPKDF16_PKPDF16_EviT2_lT3_lT_lT4_lS9_li.kd
    .uniform_work_group_size: 1
    .uses_dynamic_stack: false
    .vgpr_count:     10
    .vgpr_spill_count: 0
    .wavefront_size: 32
amdhsa.target:   amdgcn-amd-amdhsa--gfx1250
amdhsa.version:
  - 1
  - 2
...

	.end_amdgpu_metadata
